;; amdgpu-corpus repo=ggml-org/llama.cpp kind=compiled arch=gfx950 opt=O3
	.amdgcn_target "amdgcn-amd-amdhsa--gfx950"
	.amdhsa_code_object_version 6
	.section	.text._ZL16k_get_rows_floatI6__halffEvPKT_PKiPT0_ll15HIP_vector_typeIjLj3EEmmmmmmmmm,"axG",@progbits,_ZL16k_get_rows_floatI6__halffEvPKT_PKiPT0_ll15HIP_vector_typeIjLj3EEmmmmmmmmm,comdat
	.globl	_ZL16k_get_rows_floatI6__halffEvPKT_PKiPT0_ll15HIP_vector_typeIjLj3EEmmmmmmmmm ; -- Begin function _ZL16k_get_rows_floatI6__halffEvPKT_PKiPT0_ll15HIP_vector_typeIjLj3EEmmmmmmmmm
	.p2align	8
	.type	_ZL16k_get_rows_floatI6__halffEvPKT_PKiPT0_ll15HIP_vector_typeIjLj3EEmmmmmmmmm,@function
_ZL16k_get_rows_floatI6__halffEvPKT_PKiPT0_ll15HIP_vector_typeIjLj3EEmmmmmmmmm: ; @_ZL16k_get_rows_floatI6__halffEvPKT_PKiPT0_ll15HIP_vector_typeIjLj3EEmmmmmmmmm
; %bb.0:
	s_load_dwordx2 s[8:9], s[0:1], 0x20
	s_load_dwordx2 s[6:7], s[0:1], 0x2c
	s_mov_b32 s5, 0
	v_mov_b64_e32 v[2:3], s[4:5]
	s_waitcnt lgkmcnt(0)
	s_mul_i32 s9, s9, s7
	s_mul_hi_u32 s10, s8, s7
	s_add_i32 s39, s10, s9
	s_mul_i32 s38, s8, s7
	v_cmp_le_i64_e32 vcc, s[38:39], v[2:3]
	s_cbranch_vccnz .LBB0_6
; %bb.1:
	s_load_dwordx8 s[24:31], s[0:1], 0x0
	s_load_dword s33, s[0:1], 0x28
	s_load_dwordx2 s[34:35], s[0:1], 0x78
	s_load_dwordx2 s[36:37], s[0:1], 0x88
	s_load_dwordx16 s[8:23], s[0:1], 0x38
	s_waitcnt lgkmcnt(0)
	v_mov_b32_e32 v4, s24
	s_add_u32 s24, s0, 0x80
	v_mov_b32_e32 v5, s25
	s_addc_u32 s25, s1, 0
	s_and_b32 s37, s37, 0xffff
	s_mul_i32 s3, s3, s37
	v_add_u32_e32 v0, s3, v0
	s_ashr_i32 s3, s2, 31
	s_mul_hi_u32 s40, s20, s2
	s_mul_i32 s41, s20, s3
	s_add_i32 s40, s40, s41
	s_mul_i32 s21, s21, s2
	s_add_i32 s21, s40, s21
	s_mul_i32 s20, s20, s2
	s_lshl_b64 s[20:21], s[20:21], 2
	s_add_u32 s40, s26, s20
	s_mul_hi_u32 s20, s8, s2
	s_mul_i32 s3, s8, s3
	s_addc_u32 s41, s27, s21
	s_add_i32 s3, s20, s3
	s_mul_i32 s9, s9, s2
	s_add_i32 s3, s3, s9
	s_mul_i32 s2, s8, s2
	s_lshl_b64 s[2:3], s[2:3], 2
	s_add_u32 s2, s28, s2
	v_mov_b32_e32 v1, 0
	s_addc_u32 s3, s29, s3
	v_cmp_gt_i64_e64 s[0:1], s[30:31], v[0:1]
	v_lshl_add_u64 v[2:3], v[0:1], 2, s[2:3]
	s_lshl_b64 s[2:3], s[10:11], 2
	s_lshl_b64 s[8:9], s[12:13], 2
	v_lshl_add_u64 v[4:5], v[0:1], 1, v[4:5]
	v_mov_b64_e32 v[6:7], s[38:39]
	s_mov_b64 s[10:11], s[4:5]
	s_branch .LBB0_3
.LBB0_2:                                ;   in Loop: Header=BB0_3 Depth=1
	s_or_b64 exec, exec, s[12:13]
	s_add_u32 s10, s10, s36
	s_addc_u32 s11, s11, 0
	v_cmp_lt_i64_e32 vcc, s[10:11], v[6:7]
	s_cbranch_vccz .LBB0_6
.LBB0_3:                                ; =>This Loop Header: Depth=1
                                        ;     Child Loop BB0_5 Depth 2
	s_and_saveexec_b64 s[12:13], s[0:1]
	s_cbranch_execz .LBB0_2
; %bb.4:                                ;   in Loop: Header=BB0_3 Depth=1
	s_mul_hi_u32 s4, s10, s33
	s_add_i32 s4, s4, s10
	s_lshr_b32 s28, s4, s6
	s_mul_i32 s4, s28, s7
	s_ashr_i32 s38, s28, 31
	s_sub_i32 s29, s10, s4
	s_mul_i32 s4, s22, s38
	s_mul_hi_u32 s20, s22, s28
	s_add_i32 s4, s20, s4
	s_mul_i32 s20, s23, s28
	s_ashr_i32 s39, s29, 31
	s_add_i32 s21, s4, s20
	s_mul_i32 s4, s34, s39
	s_mul_hi_u32 s26, s34, s29
	s_mul_i32 s20, s22, s28
	s_add_i32 s4, s26, s4
	s_mul_i32 s26, s35, s29
	s_add_i32 s27, s4, s26
	s_lshl_b64 s[20:21], s[20:21], 2
	s_mul_i32 s26, s34, s29
	s_add_u32 s4, s40, s20
	s_addc_u32 s42, s41, s21
	s_lshl_b64 s[20:21], s[26:27], 2
	s_add_u32 s20, s4, s20
	s_addc_u32 s21, s42, s21
	s_load_dword s4, s[20:21], 0x0
	s_mul_i32 s43, s16, s28
	v_mov_b64_e32 v[12:13], v[0:1]
	s_waitcnt lgkmcnt(0)
	s_ashr_i32 s20, s4, 31
	s_mul_i32 s20, s14, s20
	s_mul_hi_u32 s21, s14, s4
	s_add_i32 s20, s21, s20
	s_mul_i32 s21, s15, s4
	s_add_i32 s26, s20, s21
	s_load_dword s21, s[24:25], 0x4
	s_mul_i32 s27, s14, s4
	s_mul_i32 s4, s16, s38
	s_mul_hi_u32 s20, s16, s28
	s_add_i32 s4, s20, s4
	s_mul_i32 s20, s17, s28
	s_add_i32 s42, s4, s20
	s_waitcnt lgkmcnt(0)
	s_mul_i32 s4, s21, s37
	s_mul_i32 s20, s2, s38
	s_mul_hi_u32 s21, s2, s28
	s_add_i32 s20, s21, s20
	s_mul_i32 s21, s3, s28
	s_add_i32 s21, s20, s21
	s_mul_i32 s20, s2, s28
	s_mul_i32 s28, s8, s39
	s_mul_hi_u32 s38, s8, s29
	s_add_i32 s28, s38, s28
	s_mul_i32 s38, s9, s29
	s_add_i32 s28, s28, s38
	s_mul_i32 s38, s8, s29
	s_add_u32 s20, s20, s38
	s_addc_u32 s21, s21, s28
	v_lshl_add_u64 v[8:9], v[2:3], 0, s[20:21]
	s_lshl_b64 s[20:21], s[4:5], 2
	s_add_u32 s27, s43, s27
	s_addc_u32 s28, s42, s26
	s_mul_i32 s26, s18, s39
	s_mul_hi_u32 s38, s18, s29
	s_add_i32 s26, s38, s26
	s_mul_i32 s38, s19, s29
	s_add_i32 s38, s26, s38
	s_mul_i32 s26, s18, s29
	s_add_u32 s26, s27, s26
	s_addc_u32 s27, s28, s38
	v_lshl_add_u64 v[10:11], v[4:5], 0, s[26:27]
	s_lshl_b64 s[26:27], s[4:5], 1
	s_mov_b64 s[28:29], 0
.LBB0_5:                                ;   Parent Loop BB0_3 Depth=1
                                        ; =>  This Inner Loop Header: Depth=2
	global_load_ushort v14, v[10:11], off
	v_lshl_add_u64 v[12:13], v[12:13], 0, s[4:5]
	v_cmp_le_i64_e32 vcc, s[30:31], v[12:13]
	v_lshl_add_u64 v[10:11], v[10:11], 0, s[26:27]
	s_or_b64 s[28:29], vcc, s[28:29]
	s_waitcnt vmcnt(0)
	v_cvt_f32_f16_e32 v14, v14
	global_store_dword v[8:9], v14, off
	v_lshl_add_u64 v[8:9], v[8:9], 0, s[20:21]
	s_andn2_b64 exec, exec, s[28:29]
	s_cbranch_execnz .LBB0_5
	s_branch .LBB0_2
.LBB0_6:
	s_endpgm
	.section	.rodata,"a",@progbits
	.p2align	6, 0x0
	.amdhsa_kernel _ZL16k_get_rows_floatI6__halffEvPKT_PKiPT0_ll15HIP_vector_typeIjLj3EEmmmmmmmmm
		.amdhsa_group_segment_fixed_size 0
		.amdhsa_private_segment_fixed_size 0
		.amdhsa_kernarg_size 384
		.amdhsa_user_sgpr_count 2
		.amdhsa_user_sgpr_dispatch_ptr 0
		.amdhsa_user_sgpr_queue_ptr 0
		.amdhsa_user_sgpr_kernarg_segment_ptr 1
		.amdhsa_user_sgpr_dispatch_id 0
		.amdhsa_user_sgpr_kernarg_preload_length 0
		.amdhsa_user_sgpr_kernarg_preload_offset 0
		.amdhsa_user_sgpr_private_segment_size 0
		.amdhsa_uses_dynamic_stack 0
		.amdhsa_enable_private_segment 0
		.amdhsa_system_sgpr_workgroup_id_x 1
		.amdhsa_system_sgpr_workgroup_id_y 1
		.amdhsa_system_sgpr_workgroup_id_z 1
		.amdhsa_system_sgpr_workgroup_info 0
		.amdhsa_system_vgpr_workitem_id 0
		.amdhsa_next_free_vgpr 15
		.amdhsa_next_free_sgpr 44
		.amdhsa_accum_offset 16
		.amdhsa_reserve_vcc 1
		.amdhsa_float_round_mode_32 0
		.amdhsa_float_round_mode_16_64 0
		.amdhsa_float_denorm_mode_32 3
		.amdhsa_float_denorm_mode_16_64 3
		.amdhsa_dx10_clamp 1
		.amdhsa_ieee_mode 1
		.amdhsa_fp16_overflow 0
		.amdhsa_tg_split 0
		.amdhsa_exception_fp_ieee_invalid_op 0
		.amdhsa_exception_fp_denorm_src 0
		.amdhsa_exception_fp_ieee_div_zero 0
		.amdhsa_exception_fp_ieee_overflow 0
		.amdhsa_exception_fp_ieee_underflow 0
		.amdhsa_exception_fp_ieee_inexact 0
		.amdhsa_exception_int_div_zero 0
	.end_amdhsa_kernel
	.section	.text._ZL16k_get_rows_floatI6__halffEvPKT_PKiPT0_ll15HIP_vector_typeIjLj3EEmmmmmmmmm,"axG",@progbits,_ZL16k_get_rows_floatI6__halffEvPKT_PKiPT0_ll15HIP_vector_typeIjLj3EEmmmmmmmmm,comdat
.Lfunc_end0:
	.size	_ZL16k_get_rows_floatI6__halffEvPKT_PKiPT0_ll15HIP_vector_typeIjLj3EEmmmmmmmmm, .Lfunc_end0-_ZL16k_get_rows_floatI6__halffEvPKT_PKiPT0_ll15HIP_vector_typeIjLj3EEmmmmmmmmm
                                        ; -- End function
	.set _ZL16k_get_rows_floatI6__halffEvPKT_PKiPT0_ll15HIP_vector_typeIjLj3EEmmmmmmmmm.num_vgpr, 15
	.set _ZL16k_get_rows_floatI6__halffEvPKT_PKiPT0_ll15HIP_vector_typeIjLj3EEmmmmmmmmm.num_agpr, 0
	.set _ZL16k_get_rows_floatI6__halffEvPKT_PKiPT0_ll15HIP_vector_typeIjLj3EEmmmmmmmmm.numbered_sgpr, 44
	.set _ZL16k_get_rows_floatI6__halffEvPKT_PKiPT0_ll15HIP_vector_typeIjLj3EEmmmmmmmmm.num_named_barrier, 0
	.set _ZL16k_get_rows_floatI6__halffEvPKT_PKiPT0_ll15HIP_vector_typeIjLj3EEmmmmmmmmm.private_seg_size, 0
	.set _ZL16k_get_rows_floatI6__halffEvPKT_PKiPT0_ll15HIP_vector_typeIjLj3EEmmmmmmmmm.uses_vcc, 1
	.set _ZL16k_get_rows_floatI6__halffEvPKT_PKiPT0_ll15HIP_vector_typeIjLj3EEmmmmmmmmm.uses_flat_scratch, 0
	.set _ZL16k_get_rows_floatI6__halffEvPKT_PKiPT0_ll15HIP_vector_typeIjLj3EEmmmmmmmmm.has_dyn_sized_stack, 0
	.set _ZL16k_get_rows_floatI6__halffEvPKT_PKiPT0_ll15HIP_vector_typeIjLj3EEmmmmmmmmm.has_recursion, 0
	.set _ZL16k_get_rows_floatI6__halffEvPKT_PKiPT0_ll15HIP_vector_typeIjLj3EEmmmmmmmmm.has_indirect_call, 0
	.section	.AMDGPU.csdata,"",@progbits
; Kernel info:
; codeLenInByte = 664
; TotalNumSgprs: 50
; NumVgprs: 15
; NumAgprs: 0
; TotalNumVgprs: 15
; ScratchSize: 0
; MemoryBound: 0
; FloatMode: 240
; IeeeMode: 1
; LDSByteSize: 0 bytes/workgroup (compile time only)
; SGPRBlocks: 6
; VGPRBlocks: 1
; NumSGPRsForWavesPerEU: 50
; NumVGPRsForWavesPerEU: 15
; AccumOffset: 16
; Occupancy: 8
; WaveLimiterHint : 1
; COMPUTE_PGM_RSRC2:SCRATCH_EN: 0
; COMPUTE_PGM_RSRC2:USER_SGPR: 2
; COMPUTE_PGM_RSRC2:TRAP_HANDLER: 0
; COMPUTE_PGM_RSRC2:TGID_X_EN: 1
; COMPUTE_PGM_RSRC2:TGID_Y_EN: 1
; COMPUTE_PGM_RSRC2:TGID_Z_EN: 1
; COMPUTE_PGM_RSRC2:TIDIG_COMP_CNT: 0
; COMPUTE_PGM_RSRC3_GFX90A:ACCUM_OFFSET: 3
; COMPUTE_PGM_RSRC3_GFX90A:TG_SPLIT: 0
	.section	.text._ZL16k_get_rows_floatIffEvPKT_PKiPT0_ll15HIP_vector_typeIjLj3EEmmmmmmmmm,"axG",@progbits,_ZL16k_get_rows_floatIffEvPKT_PKiPT0_ll15HIP_vector_typeIjLj3EEmmmmmmmmm,comdat
	.globl	_ZL16k_get_rows_floatIffEvPKT_PKiPT0_ll15HIP_vector_typeIjLj3EEmmmmmmmmm ; -- Begin function _ZL16k_get_rows_floatIffEvPKT_PKiPT0_ll15HIP_vector_typeIjLj3EEmmmmmmmmm
	.p2align	8
	.type	_ZL16k_get_rows_floatIffEvPKT_PKiPT0_ll15HIP_vector_typeIjLj3EEmmmmmmmmm,@function
_ZL16k_get_rows_floatIffEvPKT_PKiPT0_ll15HIP_vector_typeIjLj3EEmmmmmmmmm: ; @_ZL16k_get_rows_floatIffEvPKT_PKiPT0_ll15HIP_vector_typeIjLj3EEmmmmmmmmm
; %bb.0:
	s_load_dwordx2 s[8:9], s[0:1], 0x20
	s_load_dwordx2 s[6:7], s[0:1], 0x2c
	s_mov_b32 s5, 0
	v_mov_b64_e32 v[2:3], s[4:5]
	s_waitcnt lgkmcnt(0)
	s_mul_i32 s9, s9, s7
	s_mul_hi_u32 s10, s8, s7
	s_add_i32 s41, s10, s9
	s_mul_i32 s40, s8, s7
	v_cmp_le_i64_e32 vcc, s[40:41], v[2:3]
	s_cbranch_vccnz .LBB1_6
; %bb.1:
	s_load_dwordx8 s[24:31], s[0:1], 0x0
	s_load_dwordx2 s[34:35], s[0:1], 0x78
	s_load_dwordx2 s[36:37], s[0:1], 0x88
	s_load_dword s33, s[0:1], 0x28
	s_load_dwordx16 s[8:23], s[0:1], 0x38
	s_add_u32 s38, s0, 0x80
	s_addc_u32 s39, s1, 0
	s_waitcnt lgkmcnt(0)
	s_and_b32 s37, s37, 0xffff
	s_mul_i32 s3, s3, s37
	v_add_u32_e32 v0, s3, v0
	s_ashr_i32 s3, s2, 31
	s_mul_hi_u32 s42, s20, s2
	s_mul_i32 s43, s20, s3
	s_add_i32 s42, s42, s43
	s_mul_i32 s21, s21, s2
	s_add_i32 s21, s42, s21
	s_mul_i32 s20, s20, s2
	s_lshl_b64 s[20:21], s[20:21], 2
	s_add_u32 s42, s26, s20
	s_mul_hi_u32 s20, s8, s2
	s_mul_i32 s3, s8, s3
	s_addc_u32 s43, s27, s21
	s_add_i32 s3, s20, s3
	s_mul_i32 s9, s9, s2
	s_add_i32 s3, s3, s9
	s_mul_i32 s2, s8, s2
	s_lshl_b64 s[2:3], s[2:3], 2
	v_mov_b32_e32 v1, 0
	s_add_u32 s2, s28, s2
	v_lshlrev_b64 v[4:5], 2, v[0:1]
	s_addc_u32 s3, s29, s3
	v_cmp_gt_i64_e64 s[0:1], s[30:31], v[0:1]
	v_lshl_add_u64 v[2:3], s[2:3], 0, v[4:5]
	s_lshl_b64 s[2:3], s[10:11], 2
	s_lshl_b64 s[8:9], s[12:13], 2
	v_lshl_add_u64 v[4:5], s[24:25], 0, v[4:5]
	v_mov_b64_e32 v[6:7], s[40:41]
	s_mov_b64 s[10:11], s[4:5]
	s_branch .LBB1_3
.LBB1_2:                                ;   in Loop: Header=BB1_3 Depth=1
	s_or_b64 exec, exec, s[12:13]
	s_add_u32 s10, s10, s36
	s_addc_u32 s11, s11, 0
	v_cmp_lt_i64_e32 vcc, s[10:11], v[6:7]
	s_cbranch_vccz .LBB1_6
.LBB1_3:                                ; =>This Loop Header: Depth=1
                                        ;     Child Loop BB1_5 Depth 2
	s_and_saveexec_b64 s[12:13], s[0:1]
	s_cbranch_execz .LBB1_2
; %bb.4:                                ;   in Loop: Header=BB1_3 Depth=1
	s_mul_hi_u32 s4, s10, s33
	s_add_i32 s4, s4, s10
	s_lshr_b32 s26, s4, s6
	s_mul_i32 s4, s26, s7
	s_ashr_i32 s28, s26, 31
	s_sub_i32 s27, s10, s4
	s_mul_i32 s4, s22, s28
	s_mul_hi_u32 s20, s22, s26
	s_add_i32 s4, s20, s4
	s_mul_i32 s20, s23, s26
	s_ashr_i32 s29, s27, 31
	s_add_i32 s21, s4, s20
	s_mul_i32 s4, s34, s29
	s_mul_hi_u32 s24, s34, s27
	s_mul_i32 s20, s22, s26
	s_add_i32 s4, s24, s4
	s_mul_i32 s24, s35, s27
	s_add_i32 s25, s4, s24
	s_lshl_b64 s[20:21], s[20:21], 2
	s_mul_i32 s24, s34, s27
	s_add_u32 s4, s42, s20
	s_addc_u32 s40, s43, s21
	s_lshl_b64 s[20:21], s[24:25], 2
	s_add_u32 s20, s4, s20
	s_addc_u32 s21, s40, s21
	s_load_dword s4, s[20:21], 0x0
	s_mul_i32 s41, s16, s26
	v_mov_b64_e32 v[12:13], v[0:1]
	s_waitcnt lgkmcnt(0)
	s_ashr_i32 s20, s4, 31
	s_mul_i32 s20, s14, s20
	s_mul_hi_u32 s21, s14, s4
	s_add_i32 s20, s21, s20
	s_mul_i32 s21, s15, s4
	s_add_i32 s24, s20, s21
	s_load_dword s21, s[38:39], 0x4
	s_mul_i32 s25, s14, s4
	s_mul_i32 s4, s16, s28
	s_mul_hi_u32 s20, s16, s26
	s_add_i32 s4, s20, s4
	s_mul_i32 s20, s17, s26
	s_add_i32 s40, s4, s20
	s_waitcnt lgkmcnt(0)
	s_mul_i32 s4, s21, s37
	s_mul_i32 s20, s2, s28
	s_mul_hi_u32 s21, s2, s26
	s_add_i32 s20, s21, s20
	s_mul_i32 s21, s3, s26
	s_add_i32 s21, s20, s21
	s_mul_i32 s20, s2, s26
	s_mul_i32 s26, s8, s29
	s_mul_hi_u32 s28, s8, s27
	s_add_i32 s26, s28, s26
	s_mul_i32 s28, s9, s27
	s_add_i32 s26, s26, s28
	s_mul_i32 s28, s8, s27
	s_add_u32 s20, s20, s28
	s_addc_u32 s21, s21, s26
	v_lshl_add_u64 v[8:9], v[2:3], 0, s[20:21]
	s_lshl_b64 s[20:21], s[4:5], 2
	s_add_u32 s25, s41, s25
	s_addc_u32 s26, s40, s24
	s_mul_i32 s24, s18, s29
	s_mul_hi_u32 s28, s18, s27
	s_add_i32 s24, s28, s24
	s_mul_i32 s28, s19, s27
	s_add_i32 s28, s24, s28
	s_mul_i32 s24, s18, s27
	s_add_u32 s24, s25, s24
	s_addc_u32 s25, s26, s28
	v_lshl_add_u64 v[10:11], v[4:5], 0, s[24:25]
	s_mov_b64 s[24:25], 0
	s_mov_b64 s[26:27], 0
.LBB1_5:                                ;   Parent Loop BB1_3 Depth=1
                                        ; =>  This Inner Loop Header: Depth=2
	v_lshl_add_u64 v[14:15], v[10:11], 0, s[26:27]
	global_load_dword v16, v[14:15], off
	v_lshl_add_u64 v[14:15], v[8:9], 0, s[26:27]
	v_lshl_add_u64 v[12:13], v[12:13], 0, s[4:5]
	s_add_u32 s26, s26, s20
	s_addc_u32 s27, s27, s21
	v_cmp_le_i64_e32 vcc, s[30:31], v[12:13]
	s_or_b64 s[24:25], vcc, s[24:25]
	s_waitcnt vmcnt(0)
	global_store_dword v[14:15], v16, off
	s_andn2_b64 exec, exec, s[24:25]
	s_cbranch_execnz .LBB1_5
	s_branch .LBB1_2
.LBB1_6:
	s_endpgm
	.section	.rodata,"a",@progbits
	.p2align	6, 0x0
	.amdhsa_kernel _ZL16k_get_rows_floatIffEvPKT_PKiPT0_ll15HIP_vector_typeIjLj3EEmmmmmmmmm
		.amdhsa_group_segment_fixed_size 0
		.amdhsa_private_segment_fixed_size 0
		.amdhsa_kernarg_size 384
		.amdhsa_user_sgpr_count 2
		.amdhsa_user_sgpr_dispatch_ptr 0
		.amdhsa_user_sgpr_queue_ptr 0
		.amdhsa_user_sgpr_kernarg_segment_ptr 1
		.amdhsa_user_sgpr_dispatch_id 0
		.amdhsa_user_sgpr_kernarg_preload_length 0
		.amdhsa_user_sgpr_kernarg_preload_offset 0
		.amdhsa_user_sgpr_private_segment_size 0
		.amdhsa_uses_dynamic_stack 0
		.amdhsa_enable_private_segment 0
		.amdhsa_system_sgpr_workgroup_id_x 1
		.amdhsa_system_sgpr_workgroup_id_y 1
		.amdhsa_system_sgpr_workgroup_id_z 1
		.amdhsa_system_sgpr_workgroup_info 0
		.amdhsa_system_vgpr_workitem_id 0
		.amdhsa_next_free_vgpr 17
		.amdhsa_next_free_sgpr 44
		.amdhsa_accum_offset 20
		.amdhsa_reserve_vcc 1
		.amdhsa_float_round_mode_32 0
		.amdhsa_float_round_mode_16_64 0
		.amdhsa_float_denorm_mode_32 3
		.amdhsa_float_denorm_mode_16_64 3
		.amdhsa_dx10_clamp 1
		.amdhsa_ieee_mode 1
		.amdhsa_fp16_overflow 0
		.amdhsa_tg_split 0
		.amdhsa_exception_fp_ieee_invalid_op 0
		.amdhsa_exception_fp_denorm_src 0
		.amdhsa_exception_fp_ieee_div_zero 0
		.amdhsa_exception_fp_ieee_overflow 0
		.amdhsa_exception_fp_ieee_underflow 0
		.amdhsa_exception_fp_ieee_inexact 0
		.amdhsa_exception_int_div_zero 0
	.end_amdhsa_kernel
	.section	.text._ZL16k_get_rows_floatIffEvPKT_PKiPT0_ll15HIP_vector_typeIjLj3EEmmmmmmmmm,"axG",@progbits,_ZL16k_get_rows_floatIffEvPKT_PKiPT0_ll15HIP_vector_typeIjLj3EEmmmmmmmmm,comdat
.Lfunc_end1:
	.size	_ZL16k_get_rows_floatIffEvPKT_PKiPT0_ll15HIP_vector_typeIjLj3EEmmmmmmmmm, .Lfunc_end1-_ZL16k_get_rows_floatIffEvPKT_PKiPT0_ll15HIP_vector_typeIjLj3EEmmmmmmmmm
                                        ; -- End function
	.set _ZL16k_get_rows_floatIffEvPKT_PKiPT0_ll15HIP_vector_typeIjLj3EEmmmmmmmmm.num_vgpr, 17
	.set _ZL16k_get_rows_floatIffEvPKT_PKiPT0_ll15HIP_vector_typeIjLj3EEmmmmmmmmm.num_agpr, 0
	.set _ZL16k_get_rows_floatIffEvPKT_PKiPT0_ll15HIP_vector_typeIjLj3EEmmmmmmmmm.numbered_sgpr, 44
	.set _ZL16k_get_rows_floatIffEvPKT_PKiPT0_ll15HIP_vector_typeIjLj3EEmmmmmmmmm.num_named_barrier, 0
	.set _ZL16k_get_rows_floatIffEvPKT_PKiPT0_ll15HIP_vector_typeIjLj3EEmmmmmmmmm.private_seg_size, 0
	.set _ZL16k_get_rows_floatIffEvPKT_PKiPT0_ll15HIP_vector_typeIjLj3EEmmmmmmmmm.uses_vcc, 1
	.set _ZL16k_get_rows_floatIffEvPKT_PKiPT0_ll15HIP_vector_typeIjLj3EEmmmmmmmmm.uses_flat_scratch, 0
	.set _ZL16k_get_rows_floatIffEvPKT_PKiPT0_ll15HIP_vector_typeIjLj3EEmmmmmmmmm.has_dyn_sized_stack, 0
	.set _ZL16k_get_rows_floatIffEvPKT_PKiPT0_ll15HIP_vector_typeIjLj3EEmmmmmmmmm.has_recursion, 0
	.set _ZL16k_get_rows_floatIffEvPKT_PKiPT0_ll15HIP_vector_typeIjLj3EEmmmmmmmmm.has_indirect_call, 0
	.section	.AMDGPU.csdata,"",@progbits
; Kernel info:
; codeLenInByte = 668
; TotalNumSgprs: 50
; NumVgprs: 17
; NumAgprs: 0
; TotalNumVgprs: 17
; ScratchSize: 0
; MemoryBound: 0
; FloatMode: 240
; IeeeMode: 1
; LDSByteSize: 0 bytes/workgroup (compile time only)
; SGPRBlocks: 6
; VGPRBlocks: 2
; NumSGPRsForWavesPerEU: 50
; NumVGPRsForWavesPerEU: 17
; AccumOffset: 20
; Occupancy: 8
; WaveLimiterHint : 1
; COMPUTE_PGM_RSRC2:SCRATCH_EN: 0
; COMPUTE_PGM_RSRC2:USER_SGPR: 2
; COMPUTE_PGM_RSRC2:TRAP_HANDLER: 0
; COMPUTE_PGM_RSRC2:TGID_X_EN: 1
; COMPUTE_PGM_RSRC2:TGID_Y_EN: 1
; COMPUTE_PGM_RSRC2:TGID_Z_EN: 1
; COMPUTE_PGM_RSRC2:TIDIG_COMP_CNT: 0
; COMPUTE_PGM_RSRC3_GFX90A:ACCUM_OFFSET: 4
; COMPUTE_PGM_RSRC3_GFX90A:TG_SPLIT: 0
	.section	.text._ZL16k_get_rows_floatIifEvPKT_PKiPT0_ll15HIP_vector_typeIjLj3EEmmmmmmmmm,"axG",@progbits,_ZL16k_get_rows_floatIifEvPKT_PKiPT0_ll15HIP_vector_typeIjLj3EEmmmmmmmmm,comdat
	.globl	_ZL16k_get_rows_floatIifEvPKT_PKiPT0_ll15HIP_vector_typeIjLj3EEmmmmmmmmm ; -- Begin function _ZL16k_get_rows_floatIifEvPKT_PKiPT0_ll15HIP_vector_typeIjLj3EEmmmmmmmmm
	.p2align	8
	.type	_ZL16k_get_rows_floatIifEvPKT_PKiPT0_ll15HIP_vector_typeIjLj3EEmmmmmmmmm,@function
_ZL16k_get_rows_floatIifEvPKT_PKiPT0_ll15HIP_vector_typeIjLj3EEmmmmmmmmm: ; @_ZL16k_get_rows_floatIifEvPKT_PKiPT0_ll15HIP_vector_typeIjLj3EEmmmmmmmmm
; %bb.0:
	s_load_dwordx2 s[6:7], s[0:1], 0x20
	s_load_dwordx2 s[34:35], s[0:1], 0x2c
	s_mov_b32 s5, 0
	v_mov_b64_e32 v[2:3], s[4:5]
	s_waitcnt lgkmcnt(0)
	s_mul_i32 s7, s7, s35
	s_mul_hi_u32 s8, s6, s35
	s_add_i32 s37, s8, s7
	s_mul_i32 s36, s6, s35
	v_cmp_le_i64_e32 vcc, s[36:37], v[2:3]
	s_cbranch_vccnz .LBB2_19
; %bb.1:
	s_load_dwordx8 s[24:31], s[0:1], 0x0
	s_load_dwordx2 s[38:39], s[0:1], 0x78
	s_load_dwordx2 s[40:41], s[0:1], 0x88
	s_load_dword s33, s[0:1], 0x28
	s_load_dwordx16 s[8:23], s[0:1], 0x38
	s_add_u32 s42, s0, 0x80
	s_addc_u32 s43, s1, 0
	s_waitcnt lgkmcnt(0)
	s_and_b32 s41, s41, 0xffff
	s_mul_i32 s3, s3, s41
	v_add_u32_e32 v0, s3, v0
	s_ashr_i32 s3, s2, 31
	s_mul_hi_u32 s6, s20, s2
	s_mul_i32 s7, s20, s3
	s_add_i32 s6, s6, s7
	s_mul_i32 s7, s21, s2
	s_add_i32 s7, s6, s7
	s_mul_i32 s6, s20, s2
	s_lshl_b64 s[6:7], s[6:7], 2
	s_add_u32 s72, s26, s6
	s_mul_hi_u32 s6, s8, s2
	s_mul_i32 s3, s8, s3
	s_addc_u32 s73, s27, s7
	s_add_i32 s3, s6, s3
	s_mul_i32 s6, s9, s2
	s_add_i32 s3, s3, s6
	s_mul_i32 s2, s8, s2
	v_mov_b32_e32 v3, 0
	s_lshl_b64 s[8:9], s[2:3], 2
	s_lshl_b64 s[10:11], s[10:11], 2
	;; [unrolled: 1-line block ×3, first 2 shown]
	v_mov_b32_e32 v1, v3
	s_add_u32 s20, s28, s8
	v_cmp_gt_i64_e64 s[0:1], s[30:31], v[0:1]
	v_lshlrev_b64 v[4:5], 2, v[0:1]
	s_addc_u32 s21, s29, s9
	v_mov_b32_e32 v18, 0x4f800000
	s_mov_b64 s[26:27], s[4:5]
	s_branch .LBB2_3
.LBB2_2:                                ;   in Loop: Header=BB2_3 Depth=1
	s_or_b64 exec, exec, s[44:45]
	s_add_u32 s26, s26, s40
	s_addc_u32 s27, s27, 0
	v_mov_b64_e32 v[6:7], s[36:37]
	v_cmp_lt_i64_e32 vcc, s[26:27], v[6:7]
	s_cbranch_vccz .LBB2_19
.LBB2_3:                                ; =>This Loop Header: Depth=1
                                        ;     Child Loop BB2_12 Depth 2
                                        ;     Child Loop BB2_18 Depth 2
	s_and_saveexec_b64 s[44:45], s[0:1]
	s_cbranch_execz .LBB2_2
; %bb.4:                                ;   in Loop: Header=BB2_3 Depth=1
	s_mul_hi_u32 s2, s26, s33
	s_add_i32 s2, s2, s26
	s_lshr_b32 s51, s2, s34
	s_mul_i32 s2, s51, s35
	s_sub_i32 s50, s26, s2
	s_ashr_i32 s52, s51, 31
	s_mul_i32 s2, s22, s52
	s_mul_hi_u32 s3, s22, s51
	s_ashr_i32 s53, s50, 31
	s_add_i32 s2, s3, s2
	s_mul_i32 s3, s23, s51
	s_mul_i32 s4, s38, s53
	s_mul_hi_u32 s6, s38, s50
	s_load_dword s48, s[42:43], 0x4
	s_add_i32 s3, s2, s3
	s_mul_i32 s2, s22, s51
	s_add_i32 s4, s6, s4
	s_mul_i32 s6, s39, s50
	s_add_i32 s7, s4, s6
	s_lshl_b64 s[2:3], s[2:3], 2
	s_mul_i32 s6, s38, s50
	s_add_u32 s4, s72, s2
	s_addc_u32 s47, s73, s3
	s_lshl_b64 s[2:3], s[6:7], 2
	s_add_u32 s46, s4, s2
	s_waitcnt lgkmcnt(0)
	s_mul_i32 s4, s48, s41
	v_lshl_add_u64 v[6:7], v[0:1], 0, s[4:5]
	s_addc_u32 s47, s47, s3
	v_cmp_gt_i64_e64 s[2:3], s[30:31], v[6:7]
	v_mov_b32_e32 v8, s30
	v_mov_b32_e32 v2, s31
	v_cndmask_b32_e64 v8, v6, v8, s[2:3]
	v_cndmask_b32_e64 v9, 0, 1, s[2:3]
	;; [unrolled: 1-line block ×3, first 2 shown]
	v_sub_co_u32_e32 v8, vcc, v8, v9
	s_nop 1
	v_subbrev_co_u32_e32 v2, vcc, 0, v2, vcc
	v_sub_co_u32_e32 v10, vcc, v8, v6
	v_mov_b32_e32 v6, v3
	s_nop 0
	v_subb_co_u32_e32 v7, vcc, v2, v7, vcc
	v_cmp_ne_u64_e32 vcc, 0, v[6:7]
                                        ; implicit-def: $vgpr8_vgpr9
	s_and_saveexec_b64 s[6:7], vcc
	s_xor_b64 s[48:49], exec, s[6:7]
	s_cbranch_execz .LBB2_6
; %bb.5:                                ;   in Loop: Header=BB2_3 Depth=1
	v_cvt_f32_u32_e32 v2, s4
	s_sub_u32 s54, 0, s4
	s_subb_u32 s55, 0, 0
	v_fmac_f32_e32 v2, 0, v18
	v_rcp_f32_e32 v2, v2
	s_nop 0
	v_mul_f32_e32 v2, 0x5f7ffffc, v2
	v_mul_f32_e32 v6, 0x2f800000, v2
	v_trunc_f32_e32 v6, v6
	v_fmac_f32_e32 v2, 0xcf800000, v6
	v_cvt_u32_f32_e32 v6, v6
	v_cvt_u32_f32_e32 v2, v2
	v_readfirstlane_b32 s56, v6
	v_readfirstlane_b32 s6, v2
	s_mul_i32 s7, s54, s56
	s_mul_hi_u32 s58, s54, s6
	s_mul_i32 s57, s55, s6
	s_add_i32 s7, s58, s7
	s_mul_i32 s59, s54, s6
	s_add_i32 s7, s7, s57
	s_mul_hi_u32 s58, s6, s59
	s_mul_i32 s60, s6, s7
	s_mul_hi_u32 s57, s6, s7
	s_add_u32 s58, s58, s60
	s_addc_u32 s57, 0, s57
	s_mul_hi_u32 s61, s56, s59
	s_mul_i32 s59, s56, s59
	s_add_u32 s58, s58, s59
	s_mul_hi_u32 s60, s56, s7
	s_addc_u32 s57, s57, s61
	s_addc_u32 s58, s60, 0
	s_mul_i32 s7, s56, s7
	s_add_u32 s7, s57, s7
	s_addc_u32 s57, 0, s58
	s_add_u32 s58, s6, s7
	s_cselect_b64 s[6:7], -1, 0
	s_cmp_lg_u64 s[6:7], 0
	s_addc_u32 s56, s56, s57
	s_mul_i32 s6, s54, s56
	s_mul_hi_u32 s7, s54, s58
	s_add_i32 s6, s7, s6
	s_mul_i32 s55, s55, s58
	s_add_i32 s6, s6, s55
	s_mul_i32 s54, s54, s58
	s_mul_hi_u32 s55, s56, s54
	s_mul_i32 s57, s56, s54
	s_mul_i32 s60, s58, s6
	s_mul_hi_u32 s54, s58, s54
	s_mul_hi_u32 s59, s58, s6
	s_add_u32 s54, s54, s60
	s_addc_u32 s59, 0, s59
	s_add_u32 s54, s54, s57
	s_mul_hi_u32 s7, s56, s6
	s_addc_u32 s54, s59, s55
	s_addc_u32 s7, s7, 0
	s_mul_i32 s6, s56, s6
	s_add_u32 s6, s54, s6
	s_addc_u32 s54, 0, s7
	s_add_u32 s55, s58, s6
	s_cselect_b64 s[6:7], -1, 0
	s_cmp_lg_u64 s[6:7], 0
	s_addc_u32 s54, s56, s54
	v_mad_u64_u32 v[8:9], s[6:7], v10, s54, 0
	v_mul_hi_u32 v2, v10, s55
	v_lshl_add_u64 v[8:9], v[2:3], 0, v[8:9]
	v_mad_u64_u32 v[14:15], s[6:7], v7, s55, 0
	v_add_co_u32_e32 v2, vcc, v8, v14
	v_mad_u64_u32 v[12:13], s[6:7], v7, s54, 0
	s_nop 0
	v_addc_co_u32_e32 v2, vcc, v9, v15, vcc
	s_nop 1
	v_addc_co_u32_e32 v13, vcc, 0, v13, vcc
	v_lshl_add_u64 v[8:9], v[2:3], 0, v[12:13]
	v_mad_u64_u32 v[12:13], s[6:7], s4, v8, 0
	v_mov_b32_e32 v2, v13
	v_mad_u64_u32 v[14:15], s[6:7], s4, v9, v[2:3]
	v_sub_co_u32_e32 v2, vcc, v10, v12
	v_cmp_le_u32_e64 s[6:7], s4, v2
	s_nop 0
	v_subb_co_u32_e32 v12, vcc, v7, v14, vcc
	v_subrev_co_u32_e32 v6, vcc, s4, v2
	v_cndmask_b32_e64 v2, 0, -1, s[6:7]
	s_nop 0
	v_subbrev_co_u32_e32 v7, vcc, 0, v12, vcc
	v_cmp_le_u32_e32 vcc, s4, v6
	v_cmp_eq_u32_e64 s[6:7], 0, v12
	v_lshl_add_u64 v[10:11], v[8:9], 0, 1
	v_cndmask_b32_e64 v6, 0, -1, vcc
	v_cmp_eq_u32_e32 vcc, 0, v7
	v_cndmask_b32_e64 v2, -1, v2, s[6:7]
	v_cmp_ne_u32_e64 s[6:7], 0, v2
	v_cndmask_b32_e32 v13, -1, v6, vcc
	v_lshl_add_u64 v[6:7], v[8:9], 0, 2
	v_cmp_ne_u32_e32 vcc, 0, v13
	s_nop 1
	v_cndmask_b32_e32 v7, v11, v7, vcc
	v_cndmask_b32_e32 v2, v10, v6, vcc
	v_cndmask_b32_e64 v9, v9, v7, s[6:7]
	v_cndmask_b32_e64 v8, v8, v2, s[6:7]
                                        ; implicit-def: $vgpr10
.LBB2_6:                                ;   in Loop: Header=BB2_3 Depth=1
	s_or_saveexec_b64 s[6:7], s[48:49]
	s_load_dword s46, s[46:47], 0x0
	s_xor_b64 exec, exec, s[6:7]
	s_cbranch_execz .LBB2_8
; %bb.7:                                ;   in Loop: Header=BB2_3 Depth=1
	v_cvt_f32_u32_e32 v2, s4
	s_sub_i32 s47, 0, s4
	v_rcp_iflag_f32_e32 v2, v2
	s_nop 0
	v_mul_f32_e32 v2, 0x4f7ffffe, v2
	v_cvt_u32_f32_e32 v2, v2
	v_mul_lo_u32 v6, s47, v2
	v_mul_hi_u32 v6, v2, v6
	v_add_u32_e32 v2, v2, v6
	v_mul_hi_u32 v2, v10, v2
	v_mul_lo_u32 v6, v2, s4
	v_sub_u32_e32 v6, v10, v6
	v_add_u32_e32 v7, 1, v2
	v_subrev_u32_e32 v8, s4, v6
	v_cmp_le_u32_e32 vcc, s4, v6
	s_nop 1
	v_cndmask_b32_e32 v6, v6, v8, vcc
	v_cndmask_b32_e32 v2, v2, v7, vcc
	v_add_u32_e32 v7, 1, v2
	v_cmp_le_u32_e32 vcc, s4, v6
	s_nop 1
	v_cndmask_b32_e32 v2, v2, v7, vcc
	v_mov_b64_e32 v[8:9], v[2:3]
.LBB2_8:                                ;   in Loop: Header=BB2_3 Depth=1
	s_or_b64 exec, exec, s[6:7]
	s_waitcnt lgkmcnt(0)
	s_ashr_i32 s6, s46, 31
	s_mul_hi_u32 s7, s14, s46
	s_mul_i32 s6, s14, s6
	s_add_i32 s74, s7, s6
	s_mul_i32 s6, s15, s46
	s_add_i32 s74, s74, s6
	s_mul_i32 s6, s16, s52
	s_mul_hi_u32 s7, s16, s51
	v_cndmask_b32_e64 v2, 1, 2, s[2:3]
	s_add_i32 s76, s7, s6
	s_mul_i32 s6, s17, s51
	v_lshl_add_u64 v[6:7], v[2:3], 0, v[8:9]
	s_mul_i32 s75, s14, s46
	s_add_i32 s76, s76, s6
	s_mul_i32 s77, s16, s51
	v_cmp_lt_u64_e32 vcc, 3, v[6:7]
	s_mov_b64 s[6:7], 0
	s_mul_i32 s78, s18, s53
	s_mul_hi_u32 s79, s18, s50
	s_mul_i32 s80, s19, s50
	s_mul_i32 s81, s18, s50
	s_mul_i32 s83, s10, s52
	s_mul_hi_u32 s84, s10, s51
	s_mul_i32 s85, s11, s51
	s_mul_i32 s82, s10, s51
	;; [unrolled: 4-line block ×3, first 2 shown]
                                        ; implicit-def: $vgpr10_vgpr11
                                        ; implicit-def: $vgpr14_vgpr15
                                        ; implicit-def: $vgpr12_vgpr13
                                        ; implicit-def: $vgpr8_vgpr9
                                        ; implicit-def: $vgpr16_vgpr17
	s_and_saveexec_b64 s[2:3], vcc
	s_xor_b64 s[2:3], exec, s[2:3]
	s_cbranch_execnz .LBB2_11
; %bb.9:                                ;   in Loop: Header=BB2_3 Depth=1
	s_andn2_saveexec_b64 s[2:3], s[2:3]
	s_cbranch_execnz .LBB2_16
.LBB2_10:                               ;   in Loop: Header=BB2_3 Depth=1
	s_or_b64 exec, exec, s[2:3]
	s_and_b64 exec, exec, s[6:7]
	s_cbranch_execz .LBB2_2
	s_branch .LBB2_17
.LBB2_11:                               ;   in Loop: Header=BB2_3 Depth=1
	s_add_u32 s6, s77, s75
	s_addc_u32 s7, s76, s74
	s_add_i32 s46, s79, s78
	s_add_i32 s46, s46, s80
	s_add_u32 s6, s6, s81
	s_addc_u32 s7, s7, s46
	s_mul_i32 s60, s4, 12
	s_mul_hi_u32 s61, s4, 12
	s_add_u32 s46, s6, s60
	s_addc_u32 s47, s7, s61
	s_add_u32 s50, s24, s46
	s_addc_u32 s51, s25, s47
	s_lshl_b64 s[52:53], s[4:5], 4
	s_lshl_b64 s[62:63], s[4:5], 3
	s_add_u32 s46, s6, s62
	s_addc_u32 s47, s7, s63
	s_add_u32 s54, s24, s46
	s_addc_u32 s55, s25, s47
	s_lshl_b64 s[46:47], s[4:5], 2
	s_add_u32 s48, s6, s46
	s_addc_u32 s49, s7, s47
	s_add_u32 s56, s24, s48
	s_addc_u32 s57, s25, s49
	;; [unrolled: 2-line block ×3, first 2 shown]
	s_add_i32 s48, s84, s83
	s_add_i32 s49, s48, s85
	;; [unrolled: 1-line block ×4, first 2 shown]
	s_add_u32 s48, s82, s89
	s_addc_u32 s49, s49, s64
	s_add_u32 s64, s48, s8
	s_addc_u32 s65, s49, s9
	;; [unrolled: 2-line block ×7, first 2 shown]
	v_and_b32_e32 v8, -4, v6
	v_mov_b32_e32 v9, v7
	s_add_u32 s66, s20, s48
	s_addc_u32 s67, s21, s49
	s_mov_b64 s[68:69], 0
	s_mov_b64 s[70:71], s[28:29]
	v_mov_b64_e32 v[10:11], v[8:9]
.LBB2_12:                               ;   Parent Loop BB2_3 Depth=1
                                        ; =>  This Inner Loop Header: Depth=2
	v_lshl_add_u64 v[12:13], s[58:59], 0, v[4:5]
	v_lshl_add_u64 v[14:15], s[56:57], 0, v[4:5]
	;; [unrolled: 1-line block ×4, first 2 shown]
	global_load_dword v2, v[12:13], off
	global_load_dword v19, v[14:15], off
	;; [unrolled: 1-line block ×4, first 2 shown]
	s_add_u32 s50, s50, s52
	s_addc_u32 s51, s51, s53
	s_add_u32 s54, s54, s52
	s_addc_u32 s55, s55, s53
	;; [unrolled: 2-line block ×4, first 2 shown]
	v_lshl_add_u64 v[20:21], s[70:71], 0, v[4:5]
	s_add_u32 s70, s70, s52
	s_addc_u32 s71, s71, s53
	v_lshl_add_u64 v[16:17], s[62:63], 0, v[4:5]
	s_add_u32 s62, s62, s52
	s_addc_u32 s63, s63, s53
	;; [unrolled: 3-line block ×3, first 2 shown]
	v_lshl_add_u64 v[12:13], s[66:67], 0, v[4:5]
	v_lshl_add_u64 v[10:11], v[10:11], 0, -4
	s_add_u32 s66, s66, s52
	v_cmp_eq_u64_e32 vcc, 0, v[10:11]
	s_addc_u32 s67, s67, s53
	s_or_b64 s[68:69], vcc, s[68:69]
	v_lshl_add_u64 v[20:21], v[20:21], 0, s[60:61]
	s_waitcnt vmcnt(3)
	v_cvt_f32_i32_e32 v2, v2
	s_waitcnt vmcnt(2)
	v_cvt_f32_i32_e32 v19, v19
	;; [unrolled: 2-line block ×4, first 2 shown]
	global_store_dword v[12:13], v2, off
	global_store_dword v[14:15], v19, off
	;; [unrolled: 1-line block ×4, first 2 shown]
	s_andn2_b64 exec, exec, s[68:69]
	s_cbranch_execnz .LBB2_12
; %bb.13:                               ;   in Loop: Header=BB2_3 Depth=1
	s_or_b64 exec, exec, s[68:69]
	v_cmp_ne_u64_e32 vcc, v[6:7], v[8:9]
	s_mov_b64 s[50:51], 0
                                        ; implicit-def: $vgpr10_vgpr11
                                        ; implicit-def: $vgpr12_vgpr13
	s_and_saveexec_b64 s[52:53], vcc
	s_xor_b64 s[52:53], exec, s[52:53]
; %bb.14:                               ;   in Loop: Header=BB2_3 Depth=1
	v_mad_u64_u32 v[10:11], s[54:55], v8, s4, v[0:1]
	v_mov_b32_e32 v2, v11
	v_mad_u64_u32 v[6:7], s[54:55], v9, s4, v[2:3]
	v_mov_b32_e32 v11, v6
	s_mov_b64 s[50:51], exec
	v_lshlrev_b64 v[12:13], 2, v[10:11]
; %bb.15:                               ;   in Loop: Header=BB2_3 Depth=1
	s_or_b64 exec, exec, s[52:53]
	v_mov_b64_e32 v[16:17], s[6:7]
	v_mov_b64_e32 v[8:9], s[46:47]
	;; [unrolled: 1-line block ×3, first 2 shown]
	s_and_b64 s[6:7], s[50:51], exec
	s_andn2_saveexec_b64 s[2:3], s[2:3]
	s_cbranch_execz .LBB2_10
.LBB2_16:                               ;   in Loop: Header=BB2_3 Depth=1
	s_add_i32 s46, s84, s83
	s_add_i32 s47, s46, s85
	;; [unrolled: 1-line block ×4, first 2 shown]
	s_add_u32 s46, s82, s89
	s_addc_u32 s47, s47, s48
	s_lshl_b64 s[48:49], s[4:5], 2
	s_add_u32 s50, s77, s75
	s_addc_u32 s51, s76, s74
	s_add_i32 s52, s79, s78
	s_add_i32 s52, s52, s80
	s_add_u32 s50, s50, s81
	s_addc_u32 s51, s51, s52
	v_mov_b64_e32 v[14:15], s[46:47]
	v_mov_b64_e32 v[8:9], s[48:49]
	;; [unrolled: 1-line block ×3, first 2 shown]
	s_or_b64 s[6:7], s[6:7], exec
	v_mov_b64_e32 v[10:11], v[0:1]
	v_mov_b64_e32 v[12:13], v[4:5]
	s_or_b64 exec, exec, s[2:3]
	s_and_b64 exec, exec, s[6:7]
	s_cbranch_execz .LBB2_2
.LBB2_17:                               ;   in Loop: Header=BB2_3 Depth=1
	v_lshl_add_u64 v[6:7], v[14:15], 0, v[12:13]
	v_lshl_add_u64 v[12:13], v[16:17], 0, v[12:13]
	;; [unrolled: 1-line block ×4, first 2 shown]
	s_mov_b64 s[2:3], 0
	v_mov_b64_e32 v[14:15], 0
.LBB2_18:                               ;   Parent Loop BB2_3 Depth=1
                                        ; =>  This Inner Loop Header: Depth=2
	v_lshl_add_u64 v[16:17], v[12:13], 0, v[14:15]
	global_load_dword v2, v[16:17], off
	v_lshl_add_u64 v[10:11], v[10:11], 0, s[4:5]
	v_cmp_le_i64_e32 vcc, s[30:31], v[10:11]
	v_lshl_add_u64 v[16:17], v[6:7], 0, v[14:15]
	v_lshl_add_u64 v[14:15], v[14:15], 0, v[8:9]
	s_or_b64 s[2:3], vcc, s[2:3]
	s_waitcnt vmcnt(0)
	v_cvt_f32_i32_e32 v2, v2
	global_store_dword v[16:17], v2, off
	s_andn2_b64 exec, exec, s[2:3]
	s_cbranch_execnz .LBB2_18
	s_branch .LBB2_2
.LBB2_19:
	s_endpgm
	.section	.rodata,"a",@progbits
	.p2align	6, 0x0
	.amdhsa_kernel _ZL16k_get_rows_floatIifEvPKT_PKiPT0_ll15HIP_vector_typeIjLj3EEmmmmmmmmm
		.amdhsa_group_segment_fixed_size 0
		.amdhsa_private_segment_fixed_size 0
		.amdhsa_kernarg_size 384
		.amdhsa_user_sgpr_count 2
		.amdhsa_user_sgpr_dispatch_ptr 0
		.amdhsa_user_sgpr_queue_ptr 0
		.amdhsa_user_sgpr_kernarg_segment_ptr 1
		.amdhsa_user_sgpr_dispatch_id 0
		.amdhsa_user_sgpr_kernarg_preload_length 0
		.amdhsa_user_sgpr_kernarg_preload_offset 0
		.amdhsa_user_sgpr_private_segment_size 0
		.amdhsa_uses_dynamic_stack 0
		.amdhsa_enable_private_segment 0
		.amdhsa_system_sgpr_workgroup_id_x 1
		.amdhsa_system_sgpr_workgroup_id_y 1
		.amdhsa_system_sgpr_workgroup_id_z 1
		.amdhsa_system_sgpr_workgroup_info 0
		.amdhsa_system_vgpr_workitem_id 0
		.amdhsa_next_free_vgpr 24
		.amdhsa_next_free_sgpr 90
		.amdhsa_accum_offset 24
		.amdhsa_reserve_vcc 1
		.amdhsa_float_round_mode_32 0
		.amdhsa_float_round_mode_16_64 0
		.amdhsa_float_denorm_mode_32 3
		.amdhsa_float_denorm_mode_16_64 3
		.amdhsa_dx10_clamp 1
		.amdhsa_ieee_mode 1
		.amdhsa_fp16_overflow 0
		.amdhsa_tg_split 0
		.amdhsa_exception_fp_ieee_invalid_op 0
		.amdhsa_exception_fp_denorm_src 0
		.amdhsa_exception_fp_ieee_div_zero 0
		.amdhsa_exception_fp_ieee_overflow 0
		.amdhsa_exception_fp_ieee_underflow 0
		.amdhsa_exception_fp_ieee_inexact 0
		.amdhsa_exception_int_div_zero 0
	.end_amdhsa_kernel
	.section	.text._ZL16k_get_rows_floatIifEvPKT_PKiPT0_ll15HIP_vector_typeIjLj3EEmmmmmmmmm,"axG",@progbits,_ZL16k_get_rows_floatIifEvPKT_PKiPT0_ll15HIP_vector_typeIjLj3EEmmmmmmmmm,comdat
.Lfunc_end2:
	.size	_ZL16k_get_rows_floatIifEvPKT_PKiPT0_ll15HIP_vector_typeIjLj3EEmmmmmmmmm, .Lfunc_end2-_ZL16k_get_rows_floatIifEvPKT_PKiPT0_ll15HIP_vector_typeIjLj3EEmmmmmmmmm
                                        ; -- End function
	.set _ZL16k_get_rows_floatIifEvPKT_PKiPT0_ll15HIP_vector_typeIjLj3EEmmmmmmmmm.num_vgpr, 24
	.set _ZL16k_get_rows_floatIifEvPKT_PKiPT0_ll15HIP_vector_typeIjLj3EEmmmmmmmmm.num_agpr, 0
	.set _ZL16k_get_rows_floatIifEvPKT_PKiPT0_ll15HIP_vector_typeIjLj3EEmmmmmmmmm.numbered_sgpr, 90
	.set _ZL16k_get_rows_floatIifEvPKT_PKiPT0_ll15HIP_vector_typeIjLj3EEmmmmmmmmm.num_named_barrier, 0
	.set _ZL16k_get_rows_floatIifEvPKT_PKiPT0_ll15HIP_vector_typeIjLj3EEmmmmmmmmm.private_seg_size, 0
	.set _ZL16k_get_rows_floatIifEvPKT_PKiPT0_ll15HIP_vector_typeIjLj3EEmmmmmmmmm.uses_vcc, 1
	.set _ZL16k_get_rows_floatIifEvPKT_PKiPT0_ll15HIP_vector_typeIjLj3EEmmmmmmmmm.uses_flat_scratch, 0
	.set _ZL16k_get_rows_floatIifEvPKT_PKiPT0_ll15HIP_vector_typeIjLj3EEmmmmmmmmm.has_dyn_sized_stack, 0
	.set _ZL16k_get_rows_floatIifEvPKT_PKiPT0_ll15HIP_vector_typeIjLj3EEmmmmmmmmm.has_recursion, 0
	.set _ZL16k_get_rows_floatIifEvPKT_PKiPT0_ll15HIP_vector_typeIjLj3EEmmmmmmmmm.has_indirect_call, 0
	.section	.AMDGPU.csdata,"",@progbits
; Kernel info:
; codeLenInByte = 2016
; TotalNumSgprs: 96
; NumVgprs: 24
; NumAgprs: 0
; TotalNumVgprs: 24
; ScratchSize: 0
; MemoryBound: 0
; FloatMode: 240
; IeeeMode: 1
; LDSByteSize: 0 bytes/workgroup (compile time only)
; SGPRBlocks: 11
; VGPRBlocks: 2
; NumSGPRsForWavesPerEU: 96
; NumVGPRsForWavesPerEU: 24
; AccumOffset: 24
; Occupancy: 8
; WaveLimiterHint : 1
; COMPUTE_PGM_RSRC2:SCRATCH_EN: 0
; COMPUTE_PGM_RSRC2:USER_SGPR: 2
; COMPUTE_PGM_RSRC2:TRAP_HANDLER: 0
; COMPUTE_PGM_RSRC2:TGID_X_EN: 1
; COMPUTE_PGM_RSRC2:TGID_Y_EN: 1
; COMPUTE_PGM_RSRC2:TGID_Z_EN: 1
; COMPUTE_PGM_RSRC2:TIDIG_COMP_CNT: 0
; COMPUTE_PGM_RSRC3_GFX90A:ACCUM_OFFSET: 5
; COMPUTE_PGM_RSRC3_GFX90A:TG_SPLIT: 0
	.section	.text._ZL16k_get_rows_floatI14__hip_bfloat16fEvPKT_PKiPT0_ll15HIP_vector_typeIjLj3EEmmmmmmmmm,"axG",@progbits,_ZL16k_get_rows_floatI14__hip_bfloat16fEvPKT_PKiPT0_ll15HIP_vector_typeIjLj3EEmmmmmmmmm,comdat
	.globl	_ZL16k_get_rows_floatI14__hip_bfloat16fEvPKT_PKiPT0_ll15HIP_vector_typeIjLj3EEmmmmmmmmm ; -- Begin function _ZL16k_get_rows_floatI14__hip_bfloat16fEvPKT_PKiPT0_ll15HIP_vector_typeIjLj3EEmmmmmmmmm
	.p2align	8
	.type	_ZL16k_get_rows_floatI14__hip_bfloat16fEvPKT_PKiPT0_ll15HIP_vector_typeIjLj3EEmmmmmmmmm,@function
_ZL16k_get_rows_floatI14__hip_bfloat16fEvPKT_PKiPT0_ll15HIP_vector_typeIjLj3EEmmmmmmmmm: ; @_ZL16k_get_rows_floatI14__hip_bfloat16fEvPKT_PKiPT0_ll15HIP_vector_typeIjLj3EEmmmmmmmmm
; %bb.0:
	s_load_dwordx2 s[8:9], s[0:1], 0x20
	s_load_dwordx2 s[6:7], s[0:1], 0x2c
	s_mov_b32 s5, 0
	v_mov_b64_e32 v[2:3], s[4:5]
	s_waitcnt lgkmcnt(0)
	s_mul_i32 s9, s9, s7
	s_mul_hi_u32 s10, s8, s7
	s_add_i32 s39, s10, s9
	s_mul_i32 s38, s8, s7
	v_cmp_le_i64_e32 vcc, s[38:39], v[2:3]
	s_cbranch_vccnz .LBB3_6
; %bb.1:
	s_load_dwordx8 s[24:31], s[0:1], 0x0
	s_load_dword s33, s[0:1], 0x28
	s_load_dwordx2 s[34:35], s[0:1], 0x78
	s_load_dwordx2 s[36:37], s[0:1], 0x88
	s_load_dwordx16 s[8:23], s[0:1], 0x38
	s_waitcnt lgkmcnt(0)
	v_mov_b32_e32 v4, s24
	s_add_u32 s24, s0, 0x80
	v_mov_b32_e32 v5, s25
	s_addc_u32 s25, s1, 0
	s_and_b32 s37, s37, 0xffff
	s_mul_i32 s3, s3, s37
	v_add_u32_e32 v0, s3, v0
	s_ashr_i32 s3, s2, 31
	s_mul_hi_u32 s40, s20, s2
	s_mul_i32 s41, s20, s3
	s_add_i32 s40, s40, s41
	s_mul_i32 s21, s21, s2
	s_add_i32 s21, s40, s21
	s_mul_i32 s20, s20, s2
	s_lshl_b64 s[20:21], s[20:21], 2
	s_add_u32 s40, s26, s20
	s_mul_hi_u32 s20, s8, s2
	s_mul_i32 s3, s8, s3
	s_addc_u32 s41, s27, s21
	s_add_i32 s3, s20, s3
	s_mul_i32 s9, s9, s2
	s_add_i32 s3, s3, s9
	s_mul_i32 s2, s8, s2
	s_lshl_b64 s[2:3], s[2:3], 2
	s_add_u32 s2, s28, s2
	v_mov_b32_e32 v1, 0
	s_addc_u32 s3, s29, s3
	v_cmp_gt_i64_e64 s[0:1], s[30:31], v[0:1]
	v_lshl_add_u64 v[2:3], v[0:1], 2, s[2:3]
	s_lshl_b64 s[2:3], s[10:11], 2
	s_lshl_b64 s[8:9], s[12:13], 2
	v_lshl_add_u64 v[4:5], v[0:1], 1, v[4:5]
	v_mov_b64_e32 v[6:7], s[38:39]
	s_mov_b64 s[10:11], s[4:5]
	s_branch .LBB3_3
.LBB3_2:                                ;   in Loop: Header=BB3_3 Depth=1
	s_or_b64 exec, exec, s[12:13]
	s_add_u32 s10, s10, s36
	s_addc_u32 s11, s11, 0
	v_cmp_lt_i64_e32 vcc, s[10:11], v[6:7]
	s_cbranch_vccz .LBB3_6
.LBB3_3:                                ; =>This Loop Header: Depth=1
                                        ;     Child Loop BB3_5 Depth 2
	s_and_saveexec_b64 s[12:13], s[0:1]
	s_cbranch_execz .LBB3_2
; %bb.4:                                ;   in Loop: Header=BB3_3 Depth=1
	s_mul_hi_u32 s4, s10, s33
	s_add_i32 s4, s4, s10
	s_lshr_b32 s28, s4, s6
	s_mul_i32 s4, s28, s7
	s_ashr_i32 s38, s28, 31
	s_sub_i32 s29, s10, s4
	s_mul_i32 s4, s22, s38
	s_mul_hi_u32 s20, s22, s28
	s_add_i32 s4, s20, s4
	s_mul_i32 s20, s23, s28
	s_ashr_i32 s39, s29, 31
	s_add_i32 s21, s4, s20
	s_mul_i32 s4, s34, s39
	s_mul_hi_u32 s26, s34, s29
	s_mul_i32 s20, s22, s28
	s_add_i32 s4, s26, s4
	s_mul_i32 s26, s35, s29
	s_add_i32 s27, s4, s26
	s_lshl_b64 s[20:21], s[20:21], 2
	s_mul_i32 s26, s34, s29
	s_add_u32 s4, s40, s20
	s_addc_u32 s42, s41, s21
	s_lshl_b64 s[20:21], s[26:27], 2
	s_add_u32 s20, s4, s20
	s_addc_u32 s21, s42, s21
	s_load_dword s4, s[20:21], 0x0
	s_mul_i32 s43, s16, s28
	v_mov_b64_e32 v[12:13], v[0:1]
	s_waitcnt lgkmcnt(0)
	s_ashr_i32 s20, s4, 31
	s_mul_i32 s20, s14, s20
	s_mul_hi_u32 s21, s14, s4
	s_add_i32 s20, s21, s20
	s_mul_i32 s21, s15, s4
	s_add_i32 s26, s20, s21
	s_load_dword s21, s[24:25], 0x4
	s_mul_i32 s27, s14, s4
	s_mul_i32 s4, s16, s38
	s_mul_hi_u32 s20, s16, s28
	s_add_i32 s4, s20, s4
	s_mul_i32 s20, s17, s28
	s_add_i32 s42, s4, s20
	s_waitcnt lgkmcnt(0)
	s_mul_i32 s4, s21, s37
	s_mul_i32 s20, s2, s38
	s_mul_hi_u32 s21, s2, s28
	s_add_i32 s20, s21, s20
	s_mul_i32 s21, s3, s28
	s_add_i32 s21, s20, s21
	s_mul_i32 s20, s2, s28
	s_mul_i32 s28, s8, s39
	s_mul_hi_u32 s38, s8, s29
	s_add_i32 s28, s38, s28
	s_mul_i32 s38, s9, s29
	s_add_i32 s28, s28, s38
	s_mul_i32 s38, s8, s29
	s_add_u32 s20, s20, s38
	s_addc_u32 s21, s21, s28
	v_lshl_add_u64 v[8:9], v[2:3], 0, s[20:21]
	s_lshl_b64 s[20:21], s[4:5], 2
	s_add_u32 s27, s43, s27
	s_addc_u32 s28, s42, s26
	s_mul_i32 s26, s18, s39
	s_mul_hi_u32 s38, s18, s29
	s_add_i32 s26, s38, s26
	s_mul_i32 s38, s19, s29
	s_add_i32 s38, s26, s38
	s_mul_i32 s26, s18, s29
	s_add_u32 s26, s27, s26
	s_addc_u32 s27, s28, s38
	v_lshl_add_u64 v[10:11], v[4:5], 0, s[26:27]
	s_lshl_b64 s[26:27], s[4:5], 1
	s_mov_b64 s[28:29], 0
.LBB3_5:                                ;   Parent Loop BB3_3 Depth=1
                                        ; =>  This Inner Loop Header: Depth=2
	global_load_ushort v14, v[10:11], off
	v_lshl_add_u64 v[12:13], v[12:13], 0, s[4:5]
	v_cmp_le_i64_e32 vcc, s[30:31], v[12:13]
	v_lshl_add_u64 v[10:11], v[10:11], 0, s[26:27]
	s_or_b64 s[28:29], vcc, s[28:29]
	s_waitcnt vmcnt(0)
	v_lshlrev_b32_e32 v14, 16, v14
	global_store_dword v[8:9], v14, off
	v_lshl_add_u64 v[8:9], v[8:9], 0, s[20:21]
	s_andn2_b64 exec, exec, s[28:29]
	s_cbranch_execnz .LBB3_5
	s_branch .LBB3_2
.LBB3_6:
	s_endpgm
	.section	.rodata,"a",@progbits
	.p2align	6, 0x0
	.amdhsa_kernel _ZL16k_get_rows_floatI14__hip_bfloat16fEvPKT_PKiPT0_ll15HIP_vector_typeIjLj3EEmmmmmmmmm
		.amdhsa_group_segment_fixed_size 0
		.amdhsa_private_segment_fixed_size 0
		.amdhsa_kernarg_size 384
		.amdhsa_user_sgpr_count 2
		.amdhsa_user_sgpr_dispatch_ptr 0
		.amdhsa_user_sgpr_queue_ptr 0
		.amdhsa_user_sgpr_kernarg_segment_ptr 1
		.amdhsa_user_sgpr_dispatch_id 0
		.amdhsa_user_sgpr_kernarg_preload_length 0
		.amdhsa_user_sgpr_kernarg_preload_offset 0
		.amdhsa_user_sgpr_private_segment_size 0
		.amdhsa_uses_dynamic_stack 0
		.amdhsa_enable_private_segment 0
		.amdhsa_system_sgpr_workgroup_id_x 1
		.amdhsa_system_sgpr_workgroup_id_y 1
		.amdhsa_system_sgpr_workgroup_id_z 1
		.amdhsa_system_sgpr_workgroup_info 0
		.amdhsa_system_vgpr_workitem_id 0
		.amdhsa_next_free_vgpr 15
		.amdhsa_next_free_sgpr 44
		.amdhsa_accum_offset 16
		.amdhsa_reserve_vcc 1
		.amdhsa_float_round_mode_32 0
		.amdhsa_float_round_mode_16_64 0
		.amdhsa_float_denorm_mode_32 3
		.amdhsa_float_denorm_mode_16_64 3
		.amdhsa_dx10_clamp 1
		.amdhsa_ieee_mode 1
		.amdhsa_fp16_overflow 0
		.amdhsa_tg_split 0
		.amdhsa_exception_fp_ieee_invalid_op 0
		.amdhsa_exception_fp_denorm_src 0
		.amdhsa_exception_fp_ieee_div_zero 0
		.amdhsa_exception_fp_ieee_overflow 0
		.amdhsa_exception_fp_ieee_underflow 0
		.amdhsa_exception_fp_ieee_inexact 0
		.amdhsa_exception_int_div_zero 0
	.end_amdhsa_kernel
	.section	.text._ZL16k_get_rows_floatI14__hip_bfloat16fEvPKT_PKiPT0_ll15HIP_vector_typeIjLj3EEmmmmmmmmm,"axG",@progbits,_ZL16k_get_rows_floatI14__hip_bfloat16fEvPKT_PKiPT0_ll15HIP_vector_typeIjLj3EEmmmmmmmmm,comdat
.Lfunc_end3:
	.size	_ZL16k_get_rows_floatI14__hip_bfloat16fEvPKT_PKiPT0_ll15HIP_vector_typeIjLj3EEmmmmmmmmm, .Lfunc_end3-_ZL16k_get_rows_floatI14__hip_bfloat16fEvPKT_PKiPT0_ll15HIP_vector_typeIjLj3EEmmmmmmmmm
                                        ; -- End function
	.set _ZL16k_get_rows_floatI14__hip_bfloat16fEvPKT_PKiPT0_ll15HIP_vector_typeIjLj3EEmmmmmmmmm.num_vgpr, 15
	.set _ZL16k_get_rows_floatI14__hip_bfloat16fEvPKT_PKiPT0_ll15HIP_vector_typeIjLj3EEmmmmmmmmm.num_agpr, 0
	.set _ZL16k_get_rows_floatI14__hip_bfloat16fEvPKT_PKiPT0_ll15HIP_vector_typeIjLj3EEmmmmmmmmm.numbered_sgpr, 44
	.set _ZL16k_get_rows_floatI14__hip_bfloat16fEvPKT_PKiPT0_ll15HIP_vector_typeIjLj3EEmmmmmmmmm.num_named_barrier, 0
	.set _ZL16k_get_rows_floatI14__hip_bfloat16fEvPKT_PKiPT0_ll15HIP_vector_typeIjLj3EEmmmmmmmmm.private_seg_size, 0
	.set _ZL16k_get_rows_floatI14__hip_bfloat16fEvPKT_PKiPT0_ll15HIP_vector_typeIjLj3EEmmmmmmmmm.uses_vcc, 1
	.set _ZL16k_get_rows_floatI14__hip_bfloat16fEvPKT_PKiPT0_ll15HIP_vector_typeIjLj3EEmmmmmmmmm.uses_flat_scratch, 0
	.set _ZL16k_get_rows_floatI14__hip_bfloat16fEvPKT_PKiPT0_ll15HIP_vector_typeIjLj3EEmmmmmmmmm.has_dyn_sized_stack, 0
	.set _ZL16k_get_rows_floatI14__hip_bfloat16fEvPKT_PKiPT0_ll15HIP_vector_typeIjLj3EEmmmmmmmmm.has_recursion, 0
	.set _ZL16k_get_rows_floatI14__hip_bfloat16fEvPKT_PKiPT0_ll15HIP_vector_typeIjLj3EEmmmmmmmmm.has_indirect_call, 0
	.section	.AMDGPU.csdata,"",@progbits
; Kernel info:
; codeLenInByte = 664
; TotalNumSgprs: 50
; NumVgprs: 15
; NumAgprs: 0
; TotalNumVgprs: 15
; ScratchSize: 0
; MemoryBound: 0
; FloatMode: 240
; IeeeMode: 1
; LDSByteSize: 0 bytes/workgroup (compile time only)
; SGPRBlocks: 6
; VGPRBlocks: 1
; NumSGPRsForWavesPerEU: 50
; NumVGPRsForWavesPerEU: 15
; AccumOffset: 16
; Occupancy: 8
; WaveLimiterHint : 1
; COMPUTE_PGM_RSRC2:SCRATCH_EN: 0
; COMPUTE_PGM_RSRC2:USER_SGPR: 2
; COMPUTE_PGM_RSRC2:TRAP_HANDLER: 0
; COMPUTE_PGM_RSRC2:TGID_X_EN: 1
; COMPUTE_PGM_RSRC2:TGID_Y_EN: 1
; COMPUTE_PGM_RSRC2:TGID_Z_EN: 1
; COMPUTE_PGM_RSRC2:TIDIG_COMP_CNT: 0
; COMPUTE_PGM_RSRC3_GFX90A:ACCUM_OFFSET: 3
; COMPUTE_PGM_RSRC3_GFX90A:TG_SPLIT: 0
	.section	.text._ZL10k_get_rowsILi128ELi1EXadL_ZL15dequantize_q1_0PKvliR15HIP_vector_typeIfLj2EEEEfEvS1_PKiPT2_llS2_IjLj3EEmmmmmmmmm,"axG",@progbits,_ZL10k_get_rowsILi128ELi1EXadL_ZL15dequantize_q1_0PKvliR15HIP_vector_typeIfLj2EEEEfEvS1_PKiPT2_llS2_IjLj3EEmmmmmmmmm,comdat
	.globl	_ZL10k_get_rowsILi128ELi1EXadL_ZL15dequantize_q1_0PKvliR15HIP_vector_typeIfLj2EEEEfEvS1_PKiPT2_llS2_IjLj3EEmmmmmmmmm ; -- Begin function _ZL10k_get_rowsILi128ELi1EXadL_ZL15dequantize_q1_0PKvliR15HIP_vector_typeIfLj2EEEEfEvS1_PKiPT2_llS2_IjLj3EEmmmmmmmmm
	.p2align	8
	.type	_ZL10k_get_rowsILi128ELi1EXadL_ZL15dequantize_q1_0PKvliR15HIP_vector_typeIfLj2EEEEfEvS1_PKiPT2_llS2_IjLj3EEmmmmmmmmm,@function
_ZL10k_get_rowsILi128ELi1EXadL_ZL15dequantize_q1_0PKvliR15HIP_vector_typeIfLj2EEEEfEvS1_PKiPT2_llS2_IjLj3EEmmmmmmmmm: ; @_ZL10k_get_rowsILi128ELi1EXadL_ZL15dequantize_q1_0PKvliR15HIP_vector_typeIfLj2EEEEfEvS1_PKiPT2_llS2_IjLj3EEmmmmmmmmm
; %bb.0:
	s_load_dwordx4 s[24:27], s[0:1], 0x18
	s_load_dwordx2 s[6:7], s[0:1], 0x2c
	s_mov_b32 s5, 0
	v_mov_b64_e32 v[2:3], s[4:5]
	s_waitcnt lgkmcnt(0)
	s_mul_i32 s8, s27, s7
	s_mul_hi_u32 s9, s26, s7
	s_add_i32 s39, s9, s8
	s_mul_i32 s38, s26, s7
	v_cmp_le_i64_e32 vcc, s[38:39], v[2:3]
	s_cbranch_vccnz .LBB4_6
; %bb.1:
	s_load_dwordx4 s[28:31], s[0:1], 0x0
	s_load_dwordx2 s[40:41], s[0:1], 0x10
	s_load_dwordx2 s[26:27], s[0:1], 0x78
	;; [unrolled: 1-line block ×3, first 2 shown]
	s_load_dword s33, s[0:1], 0x28
	s_load_dwordx16 s[8:23], s[0:1], 0x38
	s_add_u32 s36, s0, 0x80
	s_addc_u32 s37, s1, 0
	s_waitcnt lgkmcnt(0)
	s_and_b32 s35, s35, 0xffff
	s_mul_i32 s3, s3, s35
	v_add_lshl_u32 v0, s3, v0, 1
	s_ashr_i32 s3, s2, 31
	s_mul_hi_u32 s42, s20, s2
	s_mul_i32 s43, s20, s3
	s_add_i32 s42, s42, s43
	s_mul_i32 s21, s21, s2
	s_add_i32 s21, s42, s21
	s_mul_i32 s20, s20, s2
	s_lshl_b64 s[20:21], s[20:21], 2
	s_add_u32 s44, s30, s20
	s_mul_hi_u32 s20, s8, s2
	s_mul_i32 s3, s8, s3
	s_addc_u32 s45, s31, s21
	s_add_i32 s3, s20, s3
	s_mul_i32 s9, s9, s2
	s_add_i32 s3, s3, s9
	s_mul_i32 s2, s8, s2
	s_lshl_b64 s[2:3], s[2:3], 2
	v_mov_b32_e32 v1, 0
	s_add_u32 s46, s40, s2
	v_mov_b64_e32 v[2:3], v[0:1]
	v_cmp_gt_i64_e64 s[0:1], s[24:25], v[0:1]
	s_addc_u32 s47, s41, s3
	v_lshlrev_b64 v[4:5], 25, v[0:1]
	v_mov_b32_e32 v6, v1
	v_mov_b32_e32 v7, v0
	v_mov_b64_e32 v[8:9], s[38:39]
	s_mov_b64 s[2:3], s[4:5]
	s_branch .LBB4_3
.LBB4_2:                                ;   in Loop: Header=BB4_3 Depth=1
	s_or_b64 exec, exec, s[8:9]
	s_add_u32 s2, s2, s34
	s_addc_u32 s3, s3, 0
	v_cmp_ge_i64_e32 vcc, s[2:3], v[8:9]
	s_cbranch_vccnz .LBB4_6
.LBB4_3:                                ; =>This Loop Header: Depth=1
                                        ;     Child Loop BB4_5 Depth 2
	s_and_saveexec_b64 s[8:9], s[0:1]
	s_cbranch_execz .LBB4_2
; %bb.4:                                ;   in Loop: Header=BB4_3 Depth=1
	s_mul_hi_u32 s4, s2, s33
	s_add_i32 s4, s4, s2
	s_lshr_b32 s4, s4, s6
	s_mul_i32 s20, s4, s7
	s_sub_i32 s38, s2, s20
	s_ashr_i32 s39, s4, 31
	s_mul_i32 s20, s22, s39
	s_mul_hi_u32 s21, s22, s4
	s_ashr_i32 s40, s38, 31
	s_add_i32 s20, s21, s20
	s_mul_i32 s21, s23, s4
	s_mul_i32 s30, s26, s40
	s_mul_hi_u32 s31, s26, s38
	s_add_i32 s21, s20, s21
	s_mul_i32 s20, s22, s4
	s_add_i32 s30, s31, s30
	s_mul_i32 s31, s27, s38
	s_add_i32 s31, s30, s31
	s_lshl_b64 s[20:21], s[20:21], 2
	s_mul_i32 s30, s26, s38
	s_add_u32 s41, s44, s20
	s_addc_u32 s42, s45, s21
	s_lshl_b64 s[20:21], s[30:31], 2
	s_add_u32 s20, s41, s20
	s_addc_u32 s21, s42, s21
	s_load_dword s30, s[20:21], 0x0
	s_mul_i32 s20, s10, s39
	s_mul_hi_u32 s21, s10, s4
	s_add_i32 s20, s21, s20
	s_mul_i32 s21, s11, s4
	s_add_i32 s21, s20, s21
	s_mul_i32 s20, s10, s4
	s_waitcnt lgkmcnt(0)
	s_ashr_i32 s31, s30, 31
	s_lshl_b64 s[20:21], s[20:21], 2
	s_add_u32 s41, s46, s20
	s_addc_u32 s42, s47, s21
	s_mul_i32 s20, s12, s40
	s_mul_hi_u32 s21, s12, s38
	s_add_i32 s20, s21, s20
	s_mul_i32 s21, s13, s38
	s_add_i32 s21, s20, s21
	s_mul_i32 s20, s12, s38
	s_lshl_b64 s[20:21], s[20:21], 2
	s_add_u32 s20, s41, s20
	s_mul_i32 s31, s14, s31
	s_mul_hi_u32 s41, s14, s30
	s_addc_u32 s21, s42, s21
	s_add_i32 s31, s41, s31
	s_mul_i32 s41, s15, s30
	s_add_i32 s31, s31, s41
	s_mul_i32 s30, s14, s30
	s_add_u32 s30, s28, s30
	s_mul_i32 s39, s16, s39
	s_mul_hi_u32 s41, s16, s4
	s_addc_u32 s31, s29, s31
	s_add_i32 s39, s41, s39
	s_mul_i32 s41, s17, s4
	s_add_i32 s39, s39, s41
	s_mul_i32 s4, s16, s4
	s_add_u32 s4, s30, s4
	s_mul_i32 s30, s18, s40
	s_load_dword s40, s[36:37], 0x4
	s_addc_u32 s31, s31, s39
	s_mul_hi_u32 s39, s18, s38
	s_add_i32 s30, s39, s30
	s_mul_i32 s39, s19, s38
	s_add_i32 s39, s30, s39
	s_mul_i32 s30, s18, s38
	s_add_u32 s30, s4, s30
	s_waitcnt lgkmcnt(0)
	s_mul_i32 s4, s40, s35
	s_addc_u32 s31, s31, s39
	s_lshl_b64 s[38:39], s[4:5], 25
	s_mov_b32 s40, s5
	s_mov_b32 s41, s4
	s_mov_b64 s[42:43], 0
	v_mov_b64_e32 v[10:11], v[6:7]
	v_mov_b64_e32 v[12:13], v[4:5]
	;; [unrolled: 1-line block ×3, first 2 shown]
.LBB4_5:                                ;   Parent Loop BB4_3 Depth=1
                                        ; =>  This Inner Loop Header: Depth=2
	v_and_b32_e32 v18, 0x7f, v14
	v_mad_i64_i32 v[16:17], s[48:49], v13, 18, s[30:31]
	v_bfe_u32 v0, v14, 3, 4
	v_add_u32_e32 v23, 1, v18
	v_mov_b32_e32 v19, v1
	v_lshl_add_u64 v[20:21], v[16:17], 0, v[0:1]
	v_lshrrev_b32_e32 v18, 3, v23
	global_load_ushort v22, v[16:17], off
	global_load_ubyte v0, v[20:21], off offset:2
	v_lshl_add_u64 v[16:17], v[16:17], 0, v[18:19]
	global_load_ubyte v18, v[16:17], off offset:2
	v_and_b32_e32 v19, 7, v14
	v_and_b32_e32 v20, 7, v23
	v_lshl_add_u64 v[14:15], v[14:15], 0, s[4:5]
	v_ashrrev_i64 v[16:17], 30, v[10:11]
	v_cmp_le_i64_e32 vcc, s[24:25], v[14:15]
	v_lshl_add_u64 v[12:13], v[12:13], 0, s[38:39]
	v_lshl_add_u64 v[10:11], v[10:11], 0, s[40:41]
	;; [unrolled: 1-line block ×3, first 2 shown]
	s_or_b64 s[42:43], vcc, s[42:43]
	s_waitcnt vmcnt(2)
	v_cvt_f32_f16_e32 v21, v22
	s_waitcnt vmcnt(1)
	v_lshrrev_b32_e32 v0, v19, v0
	v_lshlrev_b32_e32 v0, 1, v0
	s_waitcnt vmcnt(0)
	v_lshrrev_b32_e32 v18, v20, v18
	v_lshlrev_b32_e32 v18, 1, v18
	v_and_b32_e32 v0, 2, v0
	v_and_b32_e32 v18, 2, v18
	v_add_u32_e32 v0, -1, v0
	v_add_u32_e32 v18, -1, v18
	v_cvt_f32_i32_e32 v0, v0
	v_cvt_f32_i32_e32 v19, v18
	v_mul_f32_e32 v18, v21, v0
	v_mul_f32_e32 v19, v21, v19
	global_store_dwordx2 v[16:17], v[18:19], off
	s_andn2_b64 exec, exec, s[42:43]
	s_cbranch_execnz .LBB4_5
	s_branch .LBB4_2
.LBB4_6:
	s_endpgm
	.section	.rodata,"a",@progbits
	.p2align	6, 0x0
	.amdhsa_kernel _ZL10k_get_rowsILi128ELi1EXadL_ZL15dequantize_q1_0PKvliR15HIP_vector_typeIfLj2EEEEfEvS1_PKiPT2_llS2_IjLj3EEmmmmmmmmm
		.amdhsa_group_segment_fixed_size 0
		.amdhsa_private_segment_fixed_size 0
		.amdhsa_kernarg_size 384
		.amdhsa_user_sgpr_count 2
		.amdhsa_user_sgpr_dispatch_ptr 0
		.amdhsa_user_sgpr_queue_ptr 0
		.amdhsa_user_sgpr_kernarg_segment_ptr 1
		.amdhsa_user_sgpr_dispatch_id 0
		.amdhsa_user_sgpr_kernarg_preload_length 0
		.amdhsa_user_sgpr_kernarg_preload_offset 0
		.amdhsa_user_sgpr_private_segment_size 0
		.amdhsa_uses_dynamic_stack 0
		.amdhsa_enable_private_segment 0
		.amdhsa_system_sgpr_workgroup_id_x 1
		.amdhsa_system_sgpr_workgroup_id_y 1
		.amdhsa_system_sgpr_workgroup_id_z 1
		.amdhsa_system_sgpr_workgroup_info 0
		.amdhsa_system_vgpr_workitem_id 0
		.amdhsa_next_free_vgpr 24
		.amdhsa_next_free_sgpr 50
		.amdhsa_accum_offset 24
		.amdhsa_reserve_vcc 1
		.amdhsa_float_round_mode_32 0
		.amdhsa_float_round_mode_16_64 0
		.amdhsa_float_denorm_mode_32 3
		.amdhsa_float_denorm_mode_16_64 3
		.amdhsa_dx10_clamp 1
		.amdhsa_ieee_mode 1
		.amdhsa_fp16_overflow 0
		.amdhsa_tg_split 0
		.amdhsa_exception_fp_ieee_invalid_op 0
		.amdhsa_exception_fp_denorm_src 0
		.amdhsa_exception_fp_ieee_div_zero 0
		.amdhsa_exception_fp_ieee_overflow 0
		.amdhsa_exception_fp_ieee_underflow 0
		.amdhsa_exception_fp_ieee_inexact 0
		.amdhsa_exception_int_div_zero 0
	.end_amdhsa_kernel
	.section	.text._ZL10k_get_rowsILi128ELi1EXadL_ZL15dequantize_q1_0PKvliR15HIP_vector_typeIfLj2EEEEfEvS1_PKiPT2_llS2_IjLj3EEmmmmmmmmm,"axG",@progbits,_ZL10k_get_rowsILi128ELi1EXadL_ZL15dequantize_q1_0PKvliR15HIP_vector_typeIfLj2EEEEfEvS1_PKiPT2_llS2_IjLj3EEmmmmmmmmm,comdat
.Lfunc_end4:
	.size	_ZL10k_get_rowsILi128ELi1EXadL_ZL15dequantize_q1_0PKvliR15HIP_vector_typeIfLj2EEEEfEvS1_PKiPT2_llS2_IjLj3EEmmmmmmmmm, .Lfunc_end4-_ZL10k_get_rowsILi128ELi1EXadL_ZL15dequantize_q1_0PKvliR15HIP_vector_typeIfLj2EEEEfEvS1_PKiPT2_llS2_IjLj3EEmmmmmmmmm
                                        ; -- End function
	.set _ZL10k_get_rowsILi128ELi1EXadL_ZL15dequantize_q1_0PKvliR15HIP_vector_typeIfLj2EEEEfEvS1_PKiPT2_llS2_IjLj3EEmmmmmmmmm.num_vgpr, 24
	.set _ZL10k_get_rowsILi128ELi1EXadL_ZL15dequantize_q1_0PKvliR15HIP_vector_typeIfLj2EEEEfEvS1_PKiPT2_llS2_IjLj3EEmmmmmmmmm.num_agpr, 0
	.set _ZL10k_get_rowsILi128ELi1EXadL_ZL15dequantize_q1_0PKvliR15HIP_vector_typeIfLj2EEEEfEvS1_PKiPT2_llS2_IjLj3EEmmmmmmmmm.numbered_sgpr, 50
	.set _ZL10k_get_rowsILi128ELi1EXadL_ZL15dequantize_q1_0PKvliR15HIP_vector_typeIfLj2EEEEfEvS1_PKiPT2_llS2_IjLj3EEmmmmmmmmm.num_named_barrier, 0
	.set _ZL10k_get_rowsILi128ELi1EXadL_ZL15dequantize_q1_0PKvliR15HIP_vector_typeIfLj2EEEEfEvS1_PKiPT2_llS2_IjLj3EEmmmmmmmmm.private_seg_size, 0
	.set _ZL10k_get_rowsILi128ELi1EXadL_ZL15dequantize_q1_0PKvliR15HIP_vector_typeIfLj2EEEEfEvS1_PKiPT2_llS2_IjLj3EEmmmmmmmmm.uses_vcc, 1
	.set _ZL10k_get_rowsILi128ELi1EXadL_ZL15dequantize_q1_0PKvliR15HIP_vector_typeIfLj2EEEEfEvS1_PKiPT2_llS2_IjLj3EEmmmmmmmmm.uses_flat_scratch, 0
	.set _ZL10k_get_rowsILi128ELi1EXadL_ZL15dequantize_q1_0PKvliR15HIP_vector_typeIfLj2EEEEfEvS1_PKiPT2_llS2_IjLj3EEmmmmmmmmm.has_dyn_sized_stack, 0
	.set _ZL10k_get_rowsILi128ELi1EXadL_ZL15dequantize_q1_0PKvliR15HIP_vector_typeIfLj2EEEEfEvS1_PKiPT2_llS2_IjLj3EEmmmmmmmmm.has_recursion, 0
	.set _ZL10k_get_rowsILi128ELi1EXadL_ZL15dequantize_q1_0PKvliR15HIP_vector_typeIfLj2EEEEfEvS1_PKiPT2_llS2_IjLj3EEmmmmmmmmm.has_indirect_call, 0
	.section	.AMDGPU.csdata,"",@progbits
; Kernel info:
; codeLenInByte = 832
; TotalNumSgprs: 56
; NumVgprs: 24
; NumAgprs: 0
; TotalNumVgprs: 24
; ScratchSize: 0
; MemoryBound: 0
; FloatMode: 240
; IeeeMode: 1
; LDSByteSize: 0 bytes/workgroup (compile time only)
; SGPRBlocks: 6
; VGPRBlocks: 2
; NumSGPRsForWavesPerEU: 56
; NumVGPRsForWavesPerEU: 24
; AccumOffset: 24
; Occupancy: 8
; WaveLimiterHint : 1
; COMPUTE_PGM_RSRC2:SCRATCH_EN: 0
; COMPUTE_PGM_RSRC2:USER_SGPR: 2
; COMPUTE_PGM_RSRC2:TRAP_HANDLER: 0
; COMPUTE_PGM_RSRC2:TGID_X_EN: 1
; COMPUTE_PGM_RSRC2:TGID_Y_EN: 1
; COMPUTE_PGM_RSRC2:TGID_Z_EN: 1
; COMPUTE_PGM_RSRC2:TIDIG_COMP_CNT: 0
; COMPUTE_PGM_RSRC3_GFX90A:ACCUM_OFFSET: 5
; COMPUTE_PGM_RSRC3_GFX90A:TG_SPLIT: 0
	.section	.text._ZL10k_get_rowsILi32ELi2EXadL_ZL15dequantize_q4_0PKvliR15HIP_vector_typeIfLj2EEEEfEvS1_PKiPT2_llS2_IjLj3EEmmmmmmmmm,"axG",@progbits,_ZL10k_get_rowsILi32ELi2EXadL_ZL15dequantize_q4_0PKvliR15HIP_vector_typeIfLj2EEEEfEvS1_PKiPT2_llS2_IjLj3EEmmmmmmmmm,comdat
	.globl	_ZL10k_get_rowsILi32ELi2EXadL_ZL15dequantize_q4_0PKvliR15HIP_vector_typeIfLj2EEEEfEvS1_PKiPT2_llS2_IjLj3EEmmmmmmmmm ; -- Begin function _ZL10k_get_rowsILi32ELi2EXadL_ZL15dequantize_q4_0PKvliR15HIP_vector_typeIfLj2EEEEfEvS1_PKiPT2_llS2_IjLj3EEmmmmmmmmm
	.p2align	8
	.type	_ZL10k_get_rowsILi32ELi2EXadL_ZL15dequantize_q4_0PKvliR15HIP_vector_typeIfLj2EEEEfEvS1_PKiPT2_llS2_IjLj3EEmmmmmmmmm,@function
_ZL10k_get_rowsILi32ELi2EXadL_ZL15dequantize_q4_0PKvliR15HIP_vector_typeIfLj2EEEEfEvS1_PKiPT2_llS2_IjLj3EEmmmmmmmmm: ; @_ZL10k_get_rowsILi32ELi2EXadL_ZL15dequantize_q4_0PKvliR15HIP_vector_typeIfLj2EEEEfEvS1_PKiPT2_llS2_IjLj3EEmmmmmmmmm
; %bb.0:
	s_load_dwordx4 s[24:27], s[0:1], 0x18
	s_load_dwordx2 s[6:7], s[0:1], 0x2c
	s_mov_b32 s5, 0
	v_mov_b64_e32 v[2:3], s[4:5]
	s_waitcnt lgkmcnt(0)
	s_mul_i32 s8, s27, s7
	s_mul_hi_u32 s9, s26, s7
	s_add_i32 s39, s9, s8
	s_mul_i32 s38, s26, s7
	v_cmp_le_i64_e32 vcc, s[38:39], v[2:3]
	s_cbranch_vccnz .LBB5_6
; %bb.1:
	s_load_dwordx4 s[28:31], s[0:1], 0x0
	s_load_dwordx2 s[40:41], s[0:1], 0x10
	s_load_dwordx2 s[26:27], s[0:1], 0x78
	;; [unrolled: 1-line block ×3, first 2 shown]
	s_load_dword s33, s[0:1], 0x28
	s_load_dwordx16 s[8:23], s[0:1], 0x38
	s_add_u32 s36, s0, 0x80
	s_addc_u32 s37, s1, 0
	s_waitcnt lgkmcnt(0)
	s_and_b32 s35, s35, 0xffff
	s_mul_i32 s3, s3, s35
	v_add_lshl_u32 v0, s3, v0, 1
	s_ashr_i32 s3, s2, 31
	s_mul_hi_u32 s42, s20, s2
	s_mul_i32 s43, s20, s3
	s_add_i32 s42, s42, s43
	s_mul_i32 s21, s21, s2
	s_add_i32 s21, s42, s21
	s_mul_i32 s20, s20, s2
	s_lshl_b64 s[20:21], s[20:21], 2
	s_add_u32 s42, s30, s20
	s_mul_hi_u32 s20, s8, s2
	s_mul_i32 s3, s8, s3
	s_addc_u32 s43, s31, s21
	s_add_i32 s3, s20, s3
	s_mul_i32 s9, s9, s2
	s_add_i32 s3, s3, s9
	s_mul_i32 s2, s8, s2
	s_lshl_b64 s[2:3], s[2:3], 2
	v_mov_b32_e32 v1, 0
	s_add_u32 s44, s40, s2
	v_mov_b64_e32 v[2:3], v[0:1]
	v_cmp_gt_i64_e64 s[0:1], s[24:25], v[0:1]
	s_addc_u32 s45, s41, s3
	v_lshlrev_b64 v[4:5], 27, v[0:1]
	s_movk_i32 s46, 0xffe0
	v_mov_b64_e32 v[6:7], s[38:39]
	s_mov_b64 s[2:3], s[4:5]
	s_branch .LBB5_3
.LBB5_2:                                ;   in Loop: Header=BB5_3 Depth=1
	s_or_b64 exec, exec, s[8:9]
	s_add_u32 s2, s2, s34
	s_addc_u32 s3, s3, 0
	v_cmp_ge_i64_e32 vcc, s[2:3], v[6:7]
	s_cbranch_vccnz .LBB5_6
.LBB5_3:                                ; =>This Loop Header: Depth=1
                                        ;     Child Loop BB5_5 Depth 2
	s_and_saveexec_b64 s[8:9], s[0:1]
	s_cbranch_execz .LBB5_2
; %bb.4:                                ;   in Loop: Header=BB5_3 Depth=1
	s_mul_hi_u32 s4, s2, s33
	s_add_i32 s4, s4, s2
	s_lshr_b32 s4, s4, s6
	s_mul_i32 s20, s4, s7
	s_sub_i32 s38, s2, s20
	s_ashr_i32 s39, s4, 31
	s_mul_i32 s20, s22, s39
	s_mul_hi_u32 s21, s22, s4
	s_ashr_i32 s40, s38, 31
	s_add_i32 s20, s21, s20
	s_mul_i32 s21, s23, s4
	s_mul_i32 s30, s26, s40
	s_mul_hi_u32 s31, s26, s38
	s_add_i32 s21, s20, s21
	s_mul_i32 s20, s22, s4
	s_add_i32 s30, s31, s30
	s_mul_i32 s31, s27, s38
	s_add_i32 s31, s30, s31
	s_lshl_b64 s[20:21], s[20:21], 2
	s_mul_i32 s30, s26, s38
	s_add_u32 s41, s42, s20
	s_addc_u32 s47, s43, s21
	s_lshl_b64 s[20:21], s[30:31], 2
	s_add_u32 s20, s41, s20
	s_addc_u32 s21, s47, s21
	s_load_dword s30, s[20:21], 0x0
	s_mul_i32 s20, s10, s39
	s_mul_hi_u32 s21, s10, s4
	s_add_i32 s20, s21, s20
	s_mul_i32 s21, s11, s4
	s_add_i32 s21, s20, s21
	s_mul_i32 s20, s10, s4
	s_waitcnt lgkmcnt(0)
	s_ashr_i32 s31, s30, 31
	s_lshl_b64 s[20:21], s[20:21], 2
	s_add_u32 s41, s44, s20
	s_addc_u32 s47, s45, s21
	s_mul_i32 s20, s12, s40
	s_mul_hi_u32 s21, s12, s38
	s_add_i32 s20, s21, s20
	s_mul_i32 s21, s13, s38
	s_add_i32 s21, s20, s21
	s_mul_i32 s20, s12, s38
	s_lshl_b64 s[20:21], s[20:21], 2
	s_add_u32 s20, s41, s20
	s_mul_i32 s31, s14, s31
	s_mul_hi_u32 s41, s14, s30
	s_addc_u32 s21, s47, s21
	s_add_i32 s31, s41, s31
	s_mul_i32 s41, s15, s30
	s_add_i32 s31, s31, s41
	s_mul_i32 s30, s14, s30
	s_add_u32 s30, s28, s30
	s_mul_i32 s39, s16, s39
	s_mul_hi_u32 s41, s16, s4
	s_addc_u32 s31, s29, s31
	s_add_i32 s39, s41, s39
	s_mul_i32 s41, s17, s4
	s_add_i32 s39, s39, s41
	s_mul_i32 s4, s16, s4
	s_add_u32 s4, s30, s4
	s_mul_i32 s30, s18, s40
	s_load_dword s40, s[36:37], 0x4
	s_addc_u32 s31, s31, s39
	s_mul_hi_u32 s39, s18, s38
	s_add_i32 s30, s39, s30
	s_mul_i32 s39, s19, s38
	s_add_i32 s39, s30, s39
	s_mul_i32 s30, s18, s38
	s_add_u32 s30, s4, s30
	s_waitcnt lgkmcnt(0)
	s_mul_i32 s4, s40, s35
	s_addc_u32 s31, s31, s39
	s_lshl_b64 s[38:39], s[4:5], 27
	s_mov_b64 s[40:41], 0
	v_mov_b64_e32 v[8:9], v[4:5]
	v_mov_b64_e32 v[10:11], v[2:3]
.LBB5_5:                                ;   Parent Loop BB5_3 Depth=1
                                        ; =>  This Inner Loop Header: Depth=2
	v_bfe_u32 v0, v10, 1, 4
	v_mad_i64_i32 v[12:13], s[48:49], v9, 18, s[30:31]
	v_lshl_add_u64 v[14:15], v[12:13], 0, v[0:1]
	global_load_ushort v16, v[12:13], off
	global_load_ubyte v17, v[14:15], off offset:2
	v_and_or_b32 v12, v10, s46, v0
	v_lshl_add_u64 v[10:11], v[10:11], 0, s[4:5]
	v_ashrrev_i32_e32 v13, 31, v12
	v_cmp_le_i64_e32 vcc, s[24:25], v[10:11]
	v_lshl_add_u64 v[8:9], v[8:9], 0, s[38:39]
	v_lshl_add_u64 v[12:13], v[12:13], 2, s[20:21]
	s_or_b64 s[40:41], vcc, s[40:41]
	s_waitcnt vmcnt(1)
	v_cvt_f32_f16_e32 v0, v16
	s_waitcnt vmcnt(0)
	v_and_b32_e32 v14, 15, v17
	v_lshrrev_b32_e32 v15, 4, v17
	v_add_u32_e32 v14, -8, v14
	v_add_u32_e32 v15, -8, v15
	v_cvt_f32_i32_e32 v14, v14
	v_cvt_f32_i32_e32 v15, v15
	v_mul_f32_e32 v14, v0, v14
	v_mul_f32_e32 v0, v0, v15
	global_store_dword v[12:13], v14, off
	global_store_dword v[12:13], v0, off offset:64
	s_andn2_b64 exec, exec, s[40:41]
	s_cbranch_execnz .LBB5_5
	s_branch .LBB5_2
.LBB5_6:
	s_endpgm
	.section	.rodata,"a",@progbits
	.p2align	6, 0x0
	.amdhsa_kernel _ZL10k_get_rowsILi32ELi2EXadL_ZL15dequantize_q4_0PKvliR15HIP_vector_typeIfLj2EEEEfEvS1_PKiPT2_llS2_IjLj3EEmmmmmmmmm
		.amdhsa_group_segment_fixed_size 0
		.amdhsa_private_segment_fixed_size 0
		.amdhsa_kernarg_size 384
		.amdhsa_user_sgpr_count 2
		.amdhsa_user_sgpr_dispatch_ptr 0
		.amdhsa_user_sgpr_queue_ptr 0
		.amdhsa_user_sgpr_kernarg_segment_ptr 1
		.amdhsa_user_sgpr_dispatch_id 0
		.amdhsa_user_sgpr_kernarg_preload_length 0
		.amdhsa_user_sgpr_kernarg_preload_offset 0
		.amdhsa_user_sgpr_private_segment_size 0
		.amdhsa_uses_dynamic_stack 0
		.amdhsa_enable_private_segment 0
		.amdhsa_system_sgpr_workgroup_id_x 1
		.amdhsa_system_sgpr_workgroup_id_y 1
		.amdhsa_system_sgpr_workgroup_id_z 1
		.amdhsa_system_sgpr_workgroup_info 0
		.amdhsa_system_vgpr_workitem_id 0
		.amdhsa_next_free_vgpr 18
		.amdhsa_next_free_sgpr 50
		.amdhsa_accum_offset 20
		.amdhsa_reserve_vcc 1
		.amdhsa_float_round_mode_32 0
		.amdhsa_float_round_mode_16_64 0
		.amdhsa_float_denorm_mode_32 3
		.amdhsa_float_denorm_mode_16_64 3
		.amdhsa_dx10_clamp 1
		.amdhsa_ieee_mode 1
		.amdhsa_fp16_overflow 0
		.amdhsa_tg_split 0
		.amdhsa_exception_fp_ieee_invalid_op 0
		.amdhsa_exception_fp_denorm_src 0
		.amdhsa_exception_fp_ieee_div_zero 0
		.amdhsa_exception_fp_ieee_overflow 0
		.amdhsa_exception_fp_ieee_underflow 0
		.amdhsa_exception_fp_ieee_inexact 0
		.amdhsa_exception_int_div_zero 0
	.end_amdhsa_kernel
	.section	.text._ZL10k_get_rowsILi32ELi2EXadL_ZL15dequantize_q4_0PKvliR15HIP_vector_typeIfLj2EEEEfEvS1_PKiPT2_llS2_IjLj3EEmmmmmmmmm,"axG",@progbits,_ZL10k_get_rowsILi32ELi2EXadL_ZL15dequantize_q4_0PKvliR15HIP_vector_typeIfLj2EEEEfEvS1_PKiPT2_llS2_IjLj3EEmmmmmmmmm,comdat
.Lfunc_end5:
	.size	_ZL10k_get_rowsILi32ELi2EXadL_ZL15dequantize_q4_0PKvliR15HIP_vector_typeIfLj2EEEEfEvS1_PKiPT2_llS2_IjLj3EEmmmmmmmmm, .Lfunc_end5-_ZL10k_get_rowsILi32ELi2EXadL_ZL15dequantize_q4_0PKvliR15HIP_vector_typeIfLj2EEEEfEvS1_PKiPT2_llS2_IjLj3EEmmmmmmmmm
                                        ; -- End function
	.set _ZL10k_get_rowsILi32ELi2EXadL_ZL15dequantize_q4_0PKvliR15HIP_vector_typeIfLj2EEEEfEvS1_PKiPT2_llS2_IjLj3EEmmmmmmmmm.num_vgpr, 18
	.set _ZL10k_get_rowsILi32ELi2EXadL_ZL15dequantize_q4_0PKvliR15HIP_vector_typeIfLj2EEEEfEvS1_PKiPT2_llS2_IjLj3EEmmmmmmmmm.num_agpr, 0
	.set _ZL10k_get_rowsILi32ELi2EXadL_ZL15dequantize_q4_0PKvliR15HIP_vector_typeIfLj2EEEEfEvS1_PKiPT2_llS2_IjLj3EEmmmmmmmmm.numbered_sgpr, 50
	.set _ZL10k_get_rowsILi32ELi2EXadL_ZL15dequantize_q4_0PKvliR15HIP_vector_typeIfLj2EEEEfEvS1_PKiPT2_llS2_IjLj3EEmmmmmmmmm.num_named_barrier, 0
	.set _ZL10k_get_rowsILi32ELi2EXadL_ZL15dequantize_q4_0PKvliR15HIP_vector_typeIfLj2EEEEfEvS1_PKiPT2_llS2_IjLj3EEmmmmmmmmm.private_seg_size, 0
	.set _ZL10k_get_rowsILi32ELi2EXadL_ZL15dequantize_q4_0PKvliR15HIP_vector_typeIfLj2EEEEfEvS1_PKiPT2_llS2_IjLj3EEmmmmmmmmm.uses_vcc, 1
	.set _ZL10k_get_rowsILi32ELi2EXadL_ZL15dequantize_q4_0PKvliR15HIP_vector_typeIfLj2EEEEfEvS1_PKiPT2_llS2_IjLj3EEmmmmmmmmm.uses_flat_scratch, 0
	.set _ZL10k_get_rowsILi32ELi2EXadL_ZL15dequantize_q4_0PKvliR15HIP_vector_typeIfLj2EEEEfEvS1_PKiPT2_llS2_IjLj3EEmmmmmmmmm.has_dyn_sized_stack, 0
	.set _ZL10k_get_rowsILi32ELi2EXadL_ZL15dequantize_q4_0PKvliR15HIP_vector_typeIfLj2EEEEfEvS1_PKiPT2_llS2_IjLj3EEmmmmmmmmm.has_recursion, 0
	.set _ZL10k_get_rowsILi32ELi2EXadL_ZL15dequantize_q4_0PKvliR15HIP_vector_typeIfLj2EEEEfEvS1_PKiPT2_llS2_IjLj3EEmmmmmmmmm.has_indirect_call, 0
	.section	.AMDGPU.csdata,"",@progbits
; Kernel info:
; codeLenInByte = 756
; TotalNumSgprs: 56
; NumVgprs: 18
; NumAgprs: 0
; TotalNumVgprs: 18
; ScratchSize: 0
; MemoryBound: 0
; FloatMode: 240
; IeeeMode: 1
; LDSByteSize: 0 bytes/workgroup (compile time only)
; SGPRBlocks: 6
; VGPRBlocks: 2
; NumSGPRsForWavesPerEU: 56
; NumVGPRsForWavesPerEU: 18
; AccumOffset: 20
; Occupancy: 8
; WaveLimiterHint : 1
; COMPUTE_PGM_RSRC2:SCRATCH_EN: 0
; COMPUTE_PGM_RSRC2:USER_SGPR: 2
; COMPUTE_PGM_RSRC2:TRAP_HANDLER: 0
; COMPUTE_PGM_RSRC2:TGID_X_EN: 1
; COMPUTE_PGM_RSRC2:TGID_Y_EN: 1
; COMPUTE_PGM_RSRC2:TGID_Z_EN: 1
; COMPUTE_PGM_RSRC2:TIDIG_COMP_CNT: 0
; COMPUTE_PGM_RSRC3_GFX90A:ACCUM_OFFSET: 4
; COMPUTE_PGM_RSRC3_GFX90A:TG_SPLIT: 0
	.section	.text._ZL10k_get_rowsILi32ELi2EXadL_ZL15dequantize_q4_1PKvliR15HIP_vector_typeIfLj2EEEEfEvS1_PKiPT2_llS2_IjLj3EEmmmmmmmmm,"axG",@progbits,_ZL10k_get_rowsILi32ELi2EXadL_ZL15dequantize_q4_1PKvliR15HIP_vector_typeIfLj2EEEEfEvS1_PKiPT2_llS2_IjLj3EEmmmmmmmmm,comdat
	.globl	_ZL10k_get_rowsILi32ELi2EXadL_ZL15dequantize_q4_1PKvliR15HIP_vector_typeIfLj2EEEEfEvS1_PKiPT2_llS2_IjLj3EEmmmmmmmmm ; -- Begin function _ZL10k_get_rowsILi32ELi2EXadL_ZL15dequantize_q4_1PKvliR15HIP_vector_typeIfLj2EEEEfEvS1_PKiPT2_llS2_IjLj3EEmmmmmmmmm
	.p2align	8
	.type	_ZL10k_get_rowsILi32ELi2EXadL_ZL15dequantize_q4_1PKvliR15HIP_vector_typeIfLj2EEEEfEvS1_PKiPT2_llS2_IjLj3EEmmmmmmmmm,@function
_ZL10k_get_rowsILi32ELi2EXadL_ZL15dequantize_q4_1PKvliR15HIP_vector_typeIfLj2EEEEfEvS1_PKiPT2_llS2_IjLj3EEmmmmmmmmm: ; @_ZL10k_get_rowsILi32ELi2EXadL_ZL15dequantize_q4_1PKvliR15HIP_vector_typeIfLj2EEEEfEvS1_PKiPT2_llS2_IjLj3EEmmmmmmmmm
; %bb.0:
	s_load_dwordx4 s[24:27], s[0:1], 0x18
	s_load_dwordx2 s[6:7], s[0:1], 0x2c
	s_mov_b32 s5, 0
	v_mov_b64_e32 v[2:3], s[4:5]
	s_waitcnt lgkmcnt(0)
	s_mul_i32 s8, s27, s7
	s_mul_hi_u32 s9, s26, s7
	s_add_i32 s39, s9, s8
	s_mul_i32 s38, s26, s7
	v_cmp_le_i64_e32 vcc, s[38:39], v[2:3]
	s_cbranch_vccnz .LBB6_6
; %bb.1:
	s_load_dwordx4 s[28:31], s[0:1], 0x0
	s_load_dwordx2 s[40:41], s[0:1], 0x10
	s_load_dwordx2 s[26:27], s[0:1], 0x78
	s_load_dwordx2 s[34:35], s[0:1], 0x88
	s_load_dword s33, s[0:1], 0x28
	s_load_dwordx16 s[8:23], s[0:1], 0x38
	s_add_u32 s36, s0, 0x80
	s_addc_u32 s37, s1, 0
	s_waitcnt lgkmcnt(0)
	s_and_b32 s35, s35, 0xffff
	s_mul_i32 s3, s3, s35
	v_add_lshl_u32 v0, s3, v0, 1
	s_ashr_i32 s3, s2, 31
	s_mul_hi_u32 s42, s20, s2
	s_mul_i32 s43, s20, s3
	s_add_i32 s42, s42, s43
	s_mul_i32 s21, s21, s2
	s_add_i32 s21, s42, s21
	s_mul_i32 s20, s20, s2
	s_lshl_b64 s[20:21], s[20:21], 2
	s_add_u32 s42, s30, s20
	s_mul_hi_u32 s20, s8, s2
	s_mul_i32 s3, s8, s3
	s_addc_u32 s43, s31, s21
	s_add_i32 s3, s20, s3
	s_mul_i32 s9, s9, s2
	s_add_i32 s3, s3, s9
	s_mul_i32 s2, s8, s2
	s_lshl_b64 s[2:3], s[2:3], 2
	v_mov_b32_e32 v1, 0
	s_add_u32 s44, s40, s2
	v_mov_b64_e32 v[2:3], v[0:1]
	v_cmp_gt_i64_e64 s[0:1], s[24:25], v[0:1]
	s_addc_u32 s45, s41, s3
	v_lshlrev_b64 v[4:5], 27, v[0:1]
	s_movk_i32 s46, 0xffe0
	v_mov_b64_e32 v[6:7], s[38:39]
	s_mov_b64 s[2:3], s[4:5]
	s_branch .LBB6_3
.LBB6_2:                                ;   in Loop: Header=BB6_3 Depth=1
	s_or_b64 exec, exec, s[8:9]
	s_add_u32 s2, s2, s34
	s_addc_u32 s3, s3, 0
	v_cmp_ge_i64_e32 vcc, s[2:3], v[6:7]
	s_cbranch_vccnz .LBB6_6
.LBB6_3:                                ; =>This Loop Header: Depth=1
                                        ;     Child Loop BB6_5 Depth 2
	s_and_saveexec_b64 s[8:9], s[0:1]
	s_cbranch_execz .LBB6_2
; %bb.4:                                ;   in Loop: Header=BB6_3 Depth=1
	s_mul_hi_u32 s4, s2, s33
	s_add_i32 s4, s4, s2
	s_lshr_b32 s4, s4, s6
	s_mul_i32 s20, s4, s7
	s_sub_i32 s38, s2, s20
	s_ashr_i32 s39, s4, 31
	s_mul_i32 s20, s22, s39
	s_mul_hi_u32 s21, s22, s4
	s_ashr_i32 s40, s38, 31
	s_add_i32 s20, s21, s20
	s_mul_i32 s21, s23, s4
	s_mul_i32 s30, s26, s40
	s_mul_hi_u32 s31, s26, s38
	s_add_i32 s21, s20, s21
	s_mul_i32 s20, s22, s4
	s_add_i32 s30, s31, s30
	s_mul_i32 s31, s27, s38
	s_add_i32 s31, s30, s31
	s_lshl_b64 s[20:21], s[20:21], 2
	s_mul_i32 s30, s26, s38
	s_add_u32 s41, s42, s20
	s_addc_u32 s47, s43, s21
	s_lshl_b64 s[20:21], s[30:31], 2
	s_add_u32 s20, s41, s20
	s_addc_u32 s21, s47, s21
	s_load_dword s30, s[20:21], 0x0
	s_mul_i32 s20, s10, s39
	s_mul_hi_u32 s21, s10, s4
	s_add_i32 s20, s21, s20
	s_mul_i32 s21, s11, s4
	s_add_i32 s21, s20, s21
	s_mul_i32 s20, s10, s4
	s_waitcnt lgkmcnt(0)
	s_ashr_i32 s31, s30, 31
	s_lshl_b64 s[20:21], s[20:21], 2
	s_add_u32 s41, s44, s20
	s_addc_u32 s47, s45, s21
	s_mul_i32 s20, s12, s40
	s_mul_hi_u32 s21, s12, s38
	s_add_i32 s20, s21, s20
	s_mul_i32 s21, s13, s38
	s_add_i32 s21, s20, s21
	s_mul_i32 s20, s12, s38
	s_lshl_b64 s[20:21], s[20:21], 2
	s_add_u32 s20, s41, s20
	s_mul_i32 s31, s14, s31
	s_mul_hi_u32 s41, s14, s30
	s_addc_u32 s21, s47, s21
	s_add_i32 s31, s41, s31
	s_mul_i32 s41, s15, s30
	s_add_i32 s31, s31, s41
	s_mul_i32 s30, s14, s30
	s_add_u32 s30, s28, s30
	s_mul_i32 s39, s16, s39
	s_mul_hi_u32 s41, s16, s4
	s_addc_u32 s31, s29, s31
	s_add_i32 s39, s41, s39
	s_mul_i32 s41, s17, s4
	s_add_i32 s39, s39, s41
	s_mul_i32 s4, s16, s4
	s_add_u32 s4, s30, s4
	s_mul_i32 s30, s18, s40
	s_load_dword s40, s[36:37], 0x4
	s_addc_u32 s31, s31, s39
	s_mul_hi_u32 s39, s18, s38
	s_add_i32 s30, s39, s30
	s_mul_i32 s39, s19, s38
	s_add_i32 s39, s30, s39
	s_mul_i32 s30, s18, s38
	s_add_u32 s30, s4, s30
	s_waitcnt lgkmcnt(0)
	s_mul_i32 s4, s40, s35
	s_addc_u32 s31, s31, s39
	s_lshl_b64 s[38:39], s[4:5], 27
	s_mov_b64 s[40:41], 0
	v_mov_b64_e32 v[8:9], v[4:5]
	v_mov_b64_e32 v[10:11], v[2:3]
.LBB6_5:                                ;   Parent Loop BB6_3 Depth=1
                                        ; =>  This Inner Loop Header: Depth=2
	v_bfe_u32 v0, v10, 1, 4
	v_mad_i64_i32 v[12:13], s[48:49], v9, 20, s[30:31]
	v_lshl_add_u64 v[14:15], v[12:13], 0, v[0:1]
	global_load_dword v16, v[12:13], off
	global_load_ubyte v17, v[14:15], off offset:4
	v_and_or_b32 v12, v10, s46, v0
	v_lshl_add_u64 v[10:11], v[10:11], 0, s[4:5]
	v_ashrrev_i32_e32 v13, 31, v12
	v_cmp_le_i64_e32 vcc, s[24:25], v[10:11]
	v_lshl_add_u64 v[8:9], v[8:9], 0, s[38:39]
	v_lshl_add_u64 v[12:13], v[12:13], 2, s[20:21]
	s_or_b64 s[40:41], vcc, s[40:41]
	s_waitcnt vmcnt(0)
	v_and_b32_e32 v0, 15, v17
	v_lshrrev_b32_e32 v14, 4, v17
	v_cvt_f32_ubyte0_e32 v0, v0
	v_cvt_f32_ubyte0_e32 v14, v14
	v_fma_mix_f32 v0, v16, v0, v16 op_sel:[0,0,1] op_sel_hi:[1,0,1]
	v_fma_mix_f32 v14, v16, v14, v16 op_sel:[0,0,1] op_sel_hi:[1,0,1]
	global_store_dword v[12:13], v0, off
	global_store_dword v[12:13], v14, off offset:64
	s_andn2_b64 exec, exec, s[40:41]
	s_cbranch_execnz .LBB6_5
	s_branch .LBB6_2
.LBB6_6:
	s_endpgm
	.section	.rodata,"a",@progbits
	.p2align	6, 0x0
	.amdhsa_kernel _ZL10k_get_rowsILi32ELi2EXadL_ZL15dequantize_q4_1PKvliR15HIP_vector_typeIfLj2EEEEfEvS1_PKiPT2_llS2_IjLj3EEmmmmmmmmm
		.amdhsa_group_segment_fixed_size 0
		.amdhsa_private_segment_fixed_size 0
		.amdhsa_kernarg_size 384
		.amdhsa_user_sgpr_count 2
		.amdhsa_user_sgpr_dispatch_ptr 0
		.amdhsa_user_sgpr_queue_ptr 0
		.amdhsa_user_sgpr_kernarg_segment_ptr 1
		.amdhsa_user_sgpr_dispatch_id 0
		.amdhsa_user_sgpr_kernarg_preload_length 0
		.amdhsa_user_sgpr_kernarg_preload_offset 0
		.amdhsa_user_sgpr_private_segment_size 0
		.amdhsa_uses_dynamic_stack 0
		.amdhsa_enable_private_segment 0
		.amdhsa_system_sgpr_workgroup_id_x 1
		.amdhsa_system_sgpr_workgroup_id_y 1
		.amdhsa_system_sgpr_workgroup_id_z 1
		.amdhsa_system_sgpr_workgroup_info 0
		.amdhsa_system_vgpr_workitem_id 0
		.amdhsa_next_free_vgpr 18
		.amdhsa_next_free_sgpr 50
		.amdhsa_accum_offset 20
		.amdhsa_reserve_vcc 1
		.amdhsa_float_round_mode_32 0
		.amdhsa_float_round_mode_16_64 0
		.amdhsa_float_denorm_mode_32 3
		.amdhsa_float_denorm_mode_16_64 3
		.amdhsa_dx10_clamp 1
		.amdhsa_ieee_mode 1
		.amdhsa_fp16_overflow 0
		.amdhsa_tg_split 0
		.amdhsa_exception_fp_ieee_invalid_op 0
		.amdhsa_exception_fp_denorm_src 0
		.amdhsa_exception_fp_ieee_div_zero 0
		.amdhsa_exception_fp_ieee_overflow 0
		.amdhsa_exception_fp_ieee_underflow 0
		.amdhsa_exception_fp_ieee_inexact 0
		.amdhsa_exception_int_div_zero 0
	.end_amdhsa_kernel
	.section	.text._ZL10k_get_rowsILi32ELi2EXadL_ZL15dequantize_q4_1PKvliR15HIP_vector_typeIfLj2EEEEfEvS1_PKiPT2_llS2_IjLj3EEmmmmmmmmm,"axG",@progbits,_ZL10k_get_rowsILi32ELi2EXadL_ZL15dequantize_q4_1PKvliR15HIP_vector_typeIfLj2EEEEfEvS1_PKiPT2_llS2_IjLj3EEmmmmmmmmm,comdat
.Lfunc_end6:
	.size	_ZL10k_get_rowsILi32ELi2EXadL_ZL15dequantize_q4_1PKvliR15HIP_vector_typeIfLj2EEEEfEvS1_PKiPT2_llS2_IjLj3EEmmmmmmmmm, .Lfunc_end6-_ZL10k_get_rowsILi32ELi2EXadL_ZL15dequantize_q4_1PKvliR15HIP_vector_typeIfLj2EEEEfEvS1_PKiPT2_llS2_IjLj3EEmmmmmmmmm
                                        ; -- End function
	.set _ZL10k_get_rowsILi32ELi2EXadL_ZL15dequantize_q4_1PKvliR15HIP_vector_typeIfLj2EEEEfEvS1_PKiPT2_llS2_IjLj3EEmmmmmmmmm.num_vgpr, 18
	.set _ZL10k_get_rowsILi32ELi2EXadL_ZL15dequantize_q4_1PKvliR15HIP_vector_typeIfLj2EEEEfEvS1_PKiPT2_llS2_IjLj3EEmmmmmmmmm.num_agpr, 0
	.set _ZL10k_get_rowsILi32ELi2EXadL_ZL15dequantize_q4_1PKvliR15HIP_vector_typeIfLj2EEEEfEvS1_PKiPT2_llS2_IjLj3EEmmmmmmmmm.numbered_sgpr, 50
	.set _ZL10k_get_rowsILi32ELi2EXadL_ZL15dequantize_q4_1PKvliR15HIP_vector_typeIfLj2EEEEfEvS1_PKiPT2_llS2_IjLj3EEmmmmmmmmm.num_named_barrier, 0
	.set _ZL10k_get_rowsILi32ELi2EXadL_ZL15dequantize_q4_1PKvliR15HIP_vector_typeIfLj2EEEEfEvS1_PKiPT2_llS2_IjLj3EEmmmmmmmmm.private_seg_size, 0
	.set _ZL10k_get_rowsILi32ELi2EXadL_ZL15dequantize_q4_1PKvliR15HIP_vector_typeIfLj2EEEEfEvS1_PKiPT2_llS2_IjLj3EEmmmmmmmmm.uses_vcc, 1
	.set _ZL10k_get_rowsILi32ELi2EXadL_ZL15dequantize_q4_1PKvliR15HIP_vector_typeIfLj2EEEEfEvS1_PKiPT2_llS2_IjLj3EEmmmmmmmmm.uses_flat_scratch, 0
	.set _ZL10k_get_rowsILi32ELi2EXadL_ZL15dequantize_q4_1PKvliR15HIP_vector_typeIfLj2EEEEfEvS1_PKiPT2_llS2_IjLj3EEmmmmmmmmm.has_dyn_sized_stack, 0
	.set _ZL10k_get_rowsILi32ELi2EXadL_ZL15dequantize_q4_1PKvliR15HIP_vector_typeIfLj2EEEEfEvS1_PKiPT2_llS2_IjLj3EEmmmmmmmmm.has_recursion, 0
	.set _ZL10k_get_rowsILi32ELi2EXadL_ZL15dequantize_q4_1PKvliR15HIP_vector_typeIfLj2EEEEfEvS1_PKiPT2_llS2_IjLj3EEmmmmmmmmm.has_indirect_call, 0
	.section	.AMDGPU.csdata,"",@progbits
; Kernel info:
; codeLenInByte = 748
; TotalNumSgprs: 56
; NumVgprs: 18
; NumAgprs: 0
; TotalNumVgprs: 18
; ScratchSize: 0
; MemoryBound: 0
; FloatMode: 240
; IeeeMode: 1
; LDSByteSize: 0 bytes/workgroup (compile time only)
; SGPRBlocks: 6
; VGPRBlocks: 2
; NumSGPRsForWavesPerEU: 56
; NumVGPRsForWavesPerEU: 18
; AccumOffset: 20
; Occupancy: 8
; WaveLimiterHint : 1
; COMPUTE_PGM_RSRC2:SCRATCH_EN: 0
; COMPUTE_PGM_RSRC2:USER_SGPR: 2
; COMPUTE_PGM_RSRC2:TRAP_HANDLER: 0
; COMPUTE_PGM_RSRC2:TGID_X_EN: 1
; COMPUTE_PGM_RSRC2:TGID_Y_EN: 1
; COMPUTE_PGM_RSRC2:TGID_Z_EN: 1
; COMPUTE_PGM_RSRC2:TIDIG_COMP_CNT: 0
; COMPUTE_PGM_RSRC3_GFX90A:ACCUM_OFFSET: 4
; COMPUTE_PGM_RSRC3_GFX90A:TG_SPLIT: 0
	.section	.text._ZL10k_get_rowsILi32ELi2EXadL_ZL15dequantize_q5_0PKvliR15HIP_vector_typeIfLj2EEEEfEvS1_PKiPT2_llS2_IjLj3EEmmmmmmmmm,"axG",@progbits,_ZL10k_get_rowsILi32ELi2EXadL_ZL15dequantize_q5_0PKvliR15HIP_vector_typeIfLj2EEEEfEvS1_PKiPT2_llS2_IjLj3EEmmmmmmmmm,comdat
	.globl	_ZL10k_get_rowsILi32ELi2EXadL_ZL15dequantize_q5_0PKvliR15HIP_vector_typeIfLj2EEEEfEvS1_PKiPT2_llS2_IjLj3EEmmmmmmmmm ; -- Begin function _ZL10k_get_rowsILi32ELi2EXadL_ZL15dequantize_q5_0PKvliR15HIP_vector_typeIfLj2EEEEfEvS1_PKiPT2_llS2_IjLj3EEmmmmmmmmm
	.p2align	8
	.type	_ZL10k_get_rowsILi32ELi2EXadL_ZL15dequantize_q5_0PKvliR15HIP_vector_typeIfLj2EEEEfEvS1_PKiPT2_llS2_IjLj3EEmmmmmmmmm,@function
_ZL10k_get_rowsILi32ELi2EXadL_ZL15dequantize_q5_0PKvliR15HIP_vector_typeIfLj2EEEEfEvS1_PKiPT2_llS2_IjLj3EEmmmmmmmmm: ; @_ZL10k_get_rowsILi32ELi2EXadL_ZL15dequantize_q5_0PKvliR15HIP_vector_typeIfLj2EEEEfEvS1_PKiPT2_llS2_IjLj3EEmmmmmmmmm
; %bb.0:
	s_load_dwordx4 s[24:27], s[0:1], 0x18
	s_load_dwordx2 s[6:7], s[0:1], 0x2c
	s_mov_b32 s5, 0
	v_mov_b64_e32 v[2:3], s[4:5]
	s_waitcnt lgkmcnt(0)
	s_mul_i32 s8, s27, s7
	s_mul_hi_u32 s9, s26, s7
	s_add_i32 s39, s9, s8
	s_mul_i32 s38, s26, s7
	v_cmp_le_i64_e32 vcc, s[38:39], v[2:3]
	s_cbranch_vccnz .LBB7_6
; %bb.1:
	s_load_dwordx4 s[28:31], s[0:1], 0x0
	s_load_dwordx2 s[40:41], s[0:1], 0x10
	s_load_dwordx2 s[26:27], s[0:1], 0x78
	;; [unrolled: 1-line block ×3, first 2 shown]
	s_load_dword s33, s[0:1], 0x28
	s_load_dwordx16 s[8:23], s[0:1], 0x38
	s_add_u32 s36, s0, 0x80
	s_addc_u32 s37, s1, 0
	s_waitcnt lgkmcnt(0)
	s_and_b32 s35, s35, 0xffff
	s_mul_i32 s3, s3, s35
	v_add_lshl_u32 v0, s3, v0, 1
	s_ashr_i32 s3, s2, 31
	s_mul_hi_u32 s42, s20, s2
	s_mul_i32 s43, s20, s3
	s_add_i32 s42, s42, s43
	s_mul_i32 s21, s21, s2
	s_add_i32 s21, s42, s21
	s_mul_i32 s20, s20, s2
	s_lshl_b64 s[20:21], s[20:21], 2
	s_add_u32 s42, s30, s20
	s_mul_hi_u32 s20, s8, s2
	s_mul_i32 s3, s8, s3
	s_addc_u32 s43, s31, s21
	s_add_i32 s3, s20, s3
	s_mul_i32 s9, s9, s2
	s_add_i32 s3, s3, s9
	s_mul_i32 s2, s8, s2
	s_lshl_b64 s[2:3], s[2:3], 2
	v_mov_b32_e32 v1, 0
	s_add_u32 s44, s40, s2
	v_mov_b64_e32 v[2:3], v[0:1]
	v_cmp_gt_i64_e64 s[0:1], s[24:25], v[0:1]
	s_addc_u32 s45, s41, s3
	v_lshlrev_b64 v[4:5], 27, v[0:1]
	s_mov_b32 s46, 0x1000706
	s_movk_i32 s47, 0xffe0
	v_mov_b64_e32 v[6:7], s[38:39]
	s_mov_b64 s[2:3], s[4:5]
	s_branch .LBB7_3
.LBB7_2:                                ;   in Loop: Header=BB7_3 Depth=1
	s_or_b64 exec, exec, s[8:9]
	s_add_u32 s2, s2, s34
	s_addc_u32 s3, s3, 0
	v_cmp_ge_i64_e32 vcc, s[2:3], v[6:7]
	s_cbranch_vccnz .LBB7_6
.LBB7_3:                                ; =>This Loop Header: Depth=1
                                        ;     Child Loop BB7_5 Depth 2
	s_and_saveexec_b64 s[8:9], s[0:1]
	s_cbranch_execz .LBB7_2
; %bb.4:                                ;   in Loop: Header=BB7_3 Depth=1
	s_mul_hi_u32 s4, s2, s33
	s_add_i32 s4, s4, s2
	s_lshr_b32 s4, s4, s6
	s_mul_i32 s20, s4, s7
	s_sub_i32 s38, s2, s20
	s_ashr_i32 s39, s4, 31
	s_mul_i32 s20, s22, s39
	s_mul_hi_u32 s21, s22, s4
	s_ashr_i32 s40, s38, 31
	s_add_i32 s20, s21, s20
	s_mul_i32 s21, s23, s4
	s_mul_i32 s30, s26, s40
	s_mul_hi_u32 s31, s26, s38
	s_add_i32 s21, s20, s21
	s_mul_i32 s20, s22, s4
	s_add_i32 s30, s31, s30
	s_mul_i32 s31, s27, s38
	s_add_i32 s31, s30, s31
	s_lshl_b64 s[20:21], s[20:21], 2
	s_mul_i32 s30, s26, s38
	s_add_u32 s41, s42, s20
	s_addc_u32 s48, s43, s21
	s_lshl_b64 s[20:21], s[30:31], 2
	s_add_u32 s20, s41, s20
	s_addc_u32 s21, s48, s21
	s_load_dword s30, s[20:21], 0x0
	s_mul_i32 s20, s10, s39
	s_mul_hi_u32 s21, s10, s4
	s_add_i32 s20, s21, s20
	s_mul_i32 s21, s11, s4
	s_add_i32 s21, s20, s21
	s_mul_i32 s20, s10, s4
	s_waitcnt lgkmcnt(0)
	s_ashr_i32 s31, s30, 31
	s_lshl_b64 s[20:21], s[20:21], 2
	s_add_u32 s41, s44, s20
	s_addc_u32 s48, s45, s21
	s_mul_i32 s20, s12, s40
	s_mul_hi_u32 s21, s12, s38
	s_add_i32 s20, s21, s20
	s_mul_i32 s21, s13, s38
	s_add_i32 s21, s20, s21
	s_mul_i32 s20, s12, s38
	s_lshl_b64 s[20:21], s[20:21], 2
	s_add_u32 s20, s41, s20
	s_mul_i32 s31, s14, s31
	s_mul_hi_u32 s41, s14, s30
	s_addc_u32 s21, s48, s21
	s_add_i32 s31, s41, s31
	s_mul_i32 s41, s15, s30
	s_add_i32 s31, s31, s41
	s_mul_i32 s30, s14, s30
	s_add_u32 s30, s28, s30
	s_mul_i32 s39, s16, s39
	s_mul_hi_u32 s41, s16, s4
	s_addc_u32 s31, s29, s31
	s_add_i32 s39, s41, s39
	s_mul_i32 s41, s17, s4
	s_add_i32 s39, s39, s41
	s_mul_i32 s4, s16, s4
	s_add_u32 s4, s30, s4
	s_mul_i32 s30, s18, s40
	s_load_dword s40, s[36:37], 0x4
	s_addc_u32 s31, s31, s39
	s_mul_hi_u32 s39, s18, s38
	s_add_i32 s30, s39, s30
	s_mul_i32 s39, s19, s38
	s_add_i32 s39, s30, s39
	s_mul_i32 s30, s18, s38
	s_add_u32 s30, s4, s30
	s_waitcnt lgkmcnt(0)
	s_mul_i32 s4, s40, s35
	s_addc_u32 s31, s31, s39
	s_lshl_b64 s[38:39], s[4:5], 27
	s_mov_b64 s[40:41], 0
	v_mov_b64_e32 v[8:9], v[4:5]
	v_mov_b64_e32 v[10:11], v[2:3]
.LBB7_5:                                ;   Parent Loop BB7_3 Depth=1
                                        ; =>  This Inner Loop Header: Depth=2
	v_bfe_u32 v0, v10, 1, 4
	v_mad_i64_i32 v[12:13], s[48:49], v9, 22, s[30:31]
	global_load_dword v14, v[12:13], off
	global_load_ushort v15, v[12:13], off offset:4
	v_lshl_add_u64 v[12:13], v[12:13], 0, v[0:1]
	global_load_ubyte v16, v[12:13], off offset:6
	v_add_u32_e32 v17, 12, v0
	v_and_or_b32 v12, v10, s47, v0
	v_lshl_add_u64 v[10:11], v[10:11], 0, s[4:5]
	v_ashrrev_i32_e32 v13, 31, v12
	v_cmp_le_i64_e32 vcc, s[24:25], v[10:11]
	v_lshl_add_u64 v[8:9], v[8:9], 0, s[38:39]
	v_lshl_add_u64 v[12:13], v[12:13], 2, s[20:21]
	s_or_b64 s[40:41], vcc, s[40:41]
	s_waitcnt vmcnt(2)
	v_cvt_f32_f16_e32 v18, v14
	s_waitcnt vmcnt(1)
	v_perm_b32 v14, v14, v15, s46
	v_lshrrev_b32_e32 v0, v0, v14
	v_lshrrev_b32_e32 v14, v17, v14
	s_waitcnt vmcnt(0)
	v_lshrrev_b16_e32 v15, 4, v16
	v_lshlrev_b32_e32 v0, 4, v0
	v_and_b32_e32 v14, 16, v14
	v_or_b32_e32 v15, -16, v15
	v_or_b32_e32 v16, -16, v16
	v_and_b32_e32 v0, 16, v0
	v_add_u32_sdwa v14, v14, sext(v15) dst_sel:DWORD dst_unused:UNUSED_PAD src0_sel:DWORD src1_sel:WORD_0
	v_add_u32_e32 v0, v16, v0
	v_cvt_f32_i32_e32 v14, v14
	v_cvt_f32_i32_e32 v0, v0
	v_mul_f32_e32 v14, v18, v14
	v_mul_f32_e32 v0, v18, v0
	global_store_dword v[12:13], v14, off offset:64
	global_store_dword v[12:13], v0, off
	s_andn2_b64 exec, exec, s[40:41]
	s_cbranch_execnz .LBB7_5
	s_branch .LBB7_2
.LBB7_6:
	s_endpgm
	.section	.rodata,"a",@progbits
	.p2align	6, 0x0
	.amdhsa_kernel _ZL10k_get_rowsILi32ELi2EXadL_ZL15dequantize_q5_0PKvliR15HIP_vector_typeIfLj2EEEEfEvS1_PKiPT2_llS2_IjLj3EEmmmmmmmmm
		.amdhsa_group_segment_fixed_size 0
		.amdhsa_private_segment_fixed_size 0
		.amdhsa_kernarg_size 384
		.amdhsa_user_sgpr_count 2
		.amdhsa_user_sgpr_dispatch_ptr 0
		.amdhsa_user_sgpr_queue_ptr 0
		.amdhsa_user_sgpr_kernarg_segment_ptr 1
		.amdhsa_user_sgpr_dispatch_id 0
		.amdhsa_user_sgpr_kernarg_preload_length 0
		.amdhsa_user_sgpr_kernarg_preload_offset 0
		.amdhsa_user_sgpr_private_segment_size 0
		.amdhsa_uses_dynamic_stack 0
		.amdhsa_enable_private_segment 0
		.amdhsa_system_sgpr_workgroup_id_x 1
		.amdhsa_system_sgpr_workgroup_id_y 1
		.amdhsa_system_sgpr_workgroup_id_z 1
		.amdhsa_system_sgpr_workgroup_info 0
		.amdhsa_system_vgpr_workitem_id 0
		.amdhsa_next_free_vgpr 19
		.amdhsa_next_free_sgpr 50
		.amdhsa_accum_offset 20
		.amdhsa_reserve_vcc 1
		.amdhsa_float_round_mode_32 0
		.amdhsa_float_round_mode_16_64 0
		.amdhsa_float_denorm_mode_32 3
		.amdhsa_float_denorm_mode_16_64 3
		.amdhsa_dx10_clamp 1
		.amdhsa_ieee_mode 1
		.amdhsa_fp16_overflow 0
		.amdhsa_tg_split 0
		.amdhsa_exception_fp_ieee_invalid_op 0
		.amdhsa_exception_fp_denorm_src 0
		.amdhsa_exception_fp_ieee_div_zero 0
		.amdhsa_exception_fp_ieee_overflow 0
		.amdhsa_exception_fp_ieee_underflow 0
		.amdhsa_exception_fp_ieee_inexact 0
		.amdhsa_exception_int_div_zero 0
	.end_amdhsa_kernel
	.section	.text._ZL10k_get_rowsILi32ELi2EXadL_ZL15dequantize_q5_0PKvliR15HIP_vector_typeIfLj2EEEEfEvS1_PKiPT2_llS2_IjLj3EEmmmmmmmmm,"axG",@progbits,_ZL10k_get_rowsILi32ELi2EXadL_ZL15dequantize_q5_0PKvliR15HIP_vector_typeIfLj2EEEEfEvS1_PKiPT2_llS2_IjLj3EEmmmmmmmmm,comdat
.Lfunc_end7:
	.size	_ZL10k_get_rowsILi32ELi2EXadL_ZL15dequantize_q5_0PKvliR15HIP_vector_typeIfLj2EEEEfEvS1_PKiPT2_llS2_IjLj3EEmmmmmmmmm, .Lfunc_end7-_ZL10k_get_rowsILi32ELi2EXadL_ZL15dequantize_q5_0PKvliR15HIP_vector_typeIfLj2EEEEfEvS1_PKiPT2_llS2_IjLj3EEmmmmmmmmm
                                        ; -- End function
	.set _ZL10k_get_rowsILi32ELi2EXadL_ZL15dequantize_q5_0PKvliR15HIP_vector_typeIfLj2EEEEfEvS1_PKiPT2_llS2_IjLj3EEmmmmmmmmm.num_vgpr, 19
	.set _ZL10k_get_rowsILi32ELi2EXadL_ZL15dequantize_q5_0PKvliR15HIP_vector_typeIfLj2EEEEfEvS1_PKiPT2_llS2_IjLj3EEmmmmmmmmm.num_agpr, 0
	.set _ZL10k_get_rowsILi32ELi2EXadL_ZL15dequantize_q5_0PKvliR15HIP_vector_typeIfLj2EEEEfEvS1_PKiPT2_llS2_IjLj3EEmmmmmmmmm.numbered_sgpr, 50
	.set _ZL10k_get_rowsILi32ELi2EXadL_ZL15dequantize_q5_0PKvliR15HIP_vector_typeIfLj2EEEEfEvS1_PKiPT2_llS2_IjLj3EEmmmmmmmmm.num_named_barrier, 0
	.set _ZL10k_get_rowsILi32ELi2EXadL_ZL15dequantize_q5_0PKvliR15HIP_vector_typeIfLj2EEEEfEvS1_PKiPT2_llS2_IjLj3EEmmmmmmmmm.private_seg_size, 0
	.set _ZL10k_get_rowsILi32ELi2EXadL_ZL15dequantize_q5_0PKvliR15HIP_vector_typeIfLj2EEEEfEvS1_PKiPT2_llS2_IjLj3EEmmmmmmmmm.uses_vcc, 1
	.set _ZL10k_get_rowsILi32ELi2EXadL_ZL15dequantize_q5_0PKvliR15HIP_vector_typeIfLj2EEEEfEvS1_PKiPT2_llS2_IjLj3EEmmmmmmmmm.uses_flat_scratch, 0
	.set _ZL10k_get_rowsILi32ELi2EXadL_ZL15dequantize_q5_0PKvliR15HIP_vector_typeIfLj2EEEEfEvS1_PKiPT2_llS2_IjLj3EEmmmmmmmmm.has_dyn_sized_stack, 0
	.set _ZL10k_get_rowsILi32ELi2EXadL_ZL15dequantize_q5_0PKvliR15HIP_vector_typeIfLj2EEEEfEvS1_PKiPT2_llS2_IjLj3EEmmmmmmmmm.has_recursion, 0
	.set _ZL10k_get_rowsILi32ELi2EXadL_ZL15dequantize_q5_0PKvliR15HIP_vector_typeIfLj2EEEEfEvS1_PKiPT2_llS2_IjLj3EEmmmmmmmmm.has_indirect_call, 0
	.section	.AMDGPU.csdata,"",@progbits
; Kernel info:
; codeLenInByte = 816
; TotalNumSgprs: 56
; NumVgprs: 19
; NumAgprs: 0
; TotalNumVgprs: 19
; ScratchSize: 0
; MemoryBound: 0
; FloatMode: 240
; IeeeMode: 1
; LDSByteSize: 0 bytes/workgroup (compile time only)
; SGPRBlocks: 6
; VGPRBlocks: 2
; NumSGPRsForWavesPerEU: 56
; NumVGPRsForWavesPerEU: 19
; AccumOffset: 20
; Occupancy: 8
; WaveLimiterHint : 1
; COMPUTE_PGM_RSRC2:SCRATCH_EN: 0
; COMPUTE_PGM_RSRC2:USER_SGPR: 2
; COMPUTE_PGM_RSRC2:TRAP_HANDLER: 0
; COMPUTE_PGM_RSRC2:TGID_X_EN: 1
; COMPUTE_PGM_RSRC2:TGID_Y_EN: 1
; COMPUTE_PGM_RSRC2:TGID_Z_EN: 1
; COMPUTE_PGM_RSRC2:TIDIG_COMP_CNT: 0
; COMPUTE_PGM_RSRC3_GFX90A:ACCUM_OFFSET: 4
; COMPUTE_PGM_RSRC3_GFX90A:TG_SPLIT: 0
	.section	.text._ZL10k_get_rowsILi32ELi2EXadL_ZL15dequantize_q5_1PKvliR15HIP_vector_typeIfLj2EEEEfEvS1_PKiPT2_llS2_IjLj3EEmmmmmmmmm,"axG",@progbits,_ZL10k_get_rowsILi32ELi2EXadL_ZL15dequantize_q5_1PKvliR15HIP_vector_typeIfLj2EEEEfEvS1_PKiPT2_llS2_IjLj3EEmmmmmmmmm,comdat
	.globl	_ZL10k_get_rowsILi32ELi2EXadL_ZL15dequantize_q5_1PKvliR15HIP_vector_typeIfLj2EEEEfEvS1_PKiPT2_llS2_IjLj3EEmmmmmmmmm ; -- Begin function _ZL10k_get_rowsILi32ELi2EXadL_ZL15dequantize_q5_1PKvliR15HIP_vector_typeIfLj2EEEEfEvS1_PKiPT2_llS2_IjLj3EEmmmmmmmmm
	.p2align	8
	.type	_ZL10k_get_rowsILi32ELi2EXadL_ZL15dequantize_q5_1PKvliR15HIP_vector_typeIfLj2EEEEfEvS1_PKiPT2_llS2_IjLj3EEmmmmmmmmm,@function
_ZL10k_get_rowsILi32ELi2EXadL_ZL15dequantize_q5_1PKvliR15HIP_vector_typeIfLj2EEEEfEvS1_PKiPT2_llS2_IjLj3EEmmmmmmmmm: ; @_ZL10k_get_rowsILi32ELi2EXadL_ZL15dequantize_q5_1PKvliR15HIP_vector_typeIfLj2EEEEfEvS1_PKiPT2_llS2_IjLj3EEmmmmmmmmm
; %bb.0:
	s_load_dwordx4 s[24:27], s[0:1], 0x18
	s_load_dwordx2 s[6:7], s[0:1], 0x2c
	s_mov_b32 s5, 0
	v_mov_b64_e32 v[2:3], s[4:5]
	s_waitcnt lgkmcnt(0)
	s_mul_i32 s8, s27, s7
	s_mul_hi_u32 s9, s26, s7
	s_add_i32 s39, s9, s8
	s_mul_i32 s38, s26, s7
	v_cmp_le_i64_e32 vcc, s[38:39], v[2:3]
	s_cbranch_vccnz .LBB8_6
; %bb.1:
	s_load_dwordx4 s[28:31], s[0:1], 0x0
	s_load_dwordx2 s[40:41], s[0:1], 0x10
	s_load_dwordx2 s[26:27], s[0:1], 0x78
	;; [unrolled: 1-line block ×3, first 2 shown]
	s_load_dword s33, s[0:1], 0x28
	s_load_dwordx16 s[8:23], s[0:1], 0x38
	s_add_u32 s36, s0, 0x80
	s_addc_u32 s37, s1, 0
	s_waitcnt lgkmcnt(0)
	s_and_b32 s35, s35, 0xffff
	s_mul_i32 s3, s3, s35
	v_add_lshl_u32 v0, s3, v0, 1
	s_ashr_i32 s3, s2, 31
	s_mul_hi_u32 s42, s20, s2
	s_mul_i32 s43, s20, s3
	s_add_i32 s42, s42, s43
	s_mul_i32 s21, s21, s2
	s_add_i32 s21, s42, s21
	s_mul_i32 s20, s20, s2
	s_lshl_b64 s[20:21], s[20:21], 2
	s_add_u32 s42, s30, s20
	s_mul_hi_u32 s20, s8, s2
	s_mul_i32 s3, s8, s3
	s_addc_u32 s43, s31, s21
	s_add_i32 s3, s20, s3
	s_mul_i32 s9, s9, s2
	s_add_i32 s3, s3, s9
	s_mul_i32 s2, s8, s2
	s_lshl_b64 s[2:3], s[2:3], 2
	v_mov_b32_e32 v1, 0
	s_add_u32 s44, s40, s2
	v_mov_b64_e32 v[2:3], v[0:1]
	v_cmp_gt_i64_e64 s[0:1], s[24:25], v[0:1]
	s_addc_u32 s45, s41, s3
	v_lshlrev_b64 v[4:5], 27, v[0:1]
	s_movk_i32 s46, 0xffe0
	v_mov_b64_e32 v[6:7], s[38:39]
	s_mov_b64 s[2:3], s[4:5]
	s_branch .LBB8_3
.LBB8_2:                                ;   in Loop: Header=BB8_3 Depth=1
	s_or_b64 exec, exec, s[8:9]
	s_add_u32 s2, s2, s34
	s_addc_u32 s3, s3, 0
	v_cmp_ge_i64_e32 vcc, s[2:3], v[6:7]
	s_cbranch_vccnz .LBB8_6
.LBB8_3:                                ; =>This Loop Header: Depth=1
                                        ;     Child Loop BB8_5 Depth 2
	s_and_saveexec_b64 s[8:9], s[0:1]
	s_cbranch_execz .LBB8_2
; %bb.4:                                ;   in Loop: Header=BB8_3 Depth=1
	s_mul_hi_u32 s4, s2, s33
	s_add_i32 s4, s4, s2
	s_lshr_b32 s4, s4, s6
	s_mul_i32 s20, s4, s7
	s_sub_i32 s38, s2, s20
	s_ashr_i32 s39, s4, 31
	s_mul_i32 s20, s22, s39
	s_mul_hi_u32 s21, s22, s4
	s_ashr_i32 s40, s38, 31
	s_add_i32 s20, s21, s20
	s_mul_i32 s21, s23, s4
	s_mul_i32 s30, s26, s40
	s_mul_hi_u32 s31, s26, s38
	s_add_i32 s21, s20, s21
	s_mul_i32 s20, s22, s4
	s_add_i32 s30, s31, s30
	s_mul_i32 s31, s27, s38
	s_add_i32 s31, s30, s31
	s_lshl_b64 s[20:21], s[20:21], 2
	s_mul_i32 s30, s26, s38
	s_add_u32 s41, s42, s20
	s_addc_u32 s47, s43, s21
	s_lshl_b64 s[20:21], s[30:31], 2
	s_add_u32 s20, s41, s20
	s_addc_u32 s21, s47, s21
	s_load_dword s30, s[20:21], 0x0
	s_mul_i32 s20, s10, s39
	s_mul_hi_u32 s21, s10, s4
	s_add_i32 s20, s21, s20
	s_mul_i32 s21, s11, s4
	s_add_i32 s21, s20, s21
	s_mul_i32 s20, s10, s4
	s_waitcnt lgkmcnt(0)
	s_ashr_i32 s31, s30, 31
	s_lshl_b64 s[20:21], s[20:21], 2
	s_add_u32 s41, s44, s20
	s_addc_u32 s47, s45, s21
	s_mul_i32 s20, s12, s40
	s_mul_hi_u32 s21, s12, s38
	s_add_i32 s20, s21, s20
	s_mul_i32 s21, s13, s38
	s_add_i32 s21, s20, s21
	s_mul_i32 s20, s12, s38
	s_lshl_b64 s[20:21], s[20:21], 2
	s_add_u32 s20, s41, s20
	s_mul_i32 s31, s14, s31
	s_mul_hi_u32 s41, s14, s30
	s_addc_u32 s21, s47, s21
	s_add_i32 s31, s41, s31
	s_mul_i32 s41, s15, s30
	s_add_i32 s31, s31, s41
	s_mul_i32 s30, s14, s30
	s_add_u32 s30, s28, s30
	s_mul_i32 s39, s16, s39
	s_mul_hi_u32 s41, s16, s4
	s_addc_u32 s31, s29, s31
	s_add_i32 s39, s41, s39
	s_mul_i32 s41, s17, s4
	s_add_i32 s39, s39, s41
	s_mul_i32 s4, s16, s4
	s_add_u32 s4, s30, s4
	s_mul_i32 s30, s18, s40
	s_load_dword s40, s[36:37], 0x4
	s_addc_u32 s31, s31, s39
	s_mul_hi_u32 s39, s18, s38
	s_add_i32 s30, s39, s30
	s_mul_i32 s39, s19, s38
	s_add_i32 s39, s30, s39
	s_mul_i32 s30, s18, s38
	s_add_u32 s30, s4, s30
	s_waitcnt lgkmcnt(0)
	s_mul_i32 s4, s40, s35
	s_addc_u32 s31, s31, s39
	s_lshl_b64 s[38:39], s[4:5], 27
	s_mov_b64 s[40:41], 0
	v_mov_b64_e32 v[8:9], v[4:5]
	v_mov_b64_e32 v[10:11], v[2:3]
.LBB8_5:                                ;   Parent Loop BB8_3 Depth=1
                                        ; =>  This Inner Loop Header: Depth=2
	v_bfe_u32 v0, v10, 1, 4
	v_mad_i64_i32 v[12:13], s[48:49], v9, 24, s[30:31]
	global_load_dwordx2 v[14:15], v[12:13], off
	v_lshl_add_u64 v[12:13], v[12:13], 0, v[0:1]
	global_load_ubyte v16, v[12:13], off offset:8
	v_add_u32_e32 v17, 12, v0
	v_and_or_b32 v12, v10, s46, v0
	v_lshl_add_u64 v[10:11], v[10:11], 0, s[4:5]
	v_ashrrev_i32_e32 v13, 31, v12
	v_cmp_le_i64_e32 vcc, s[24:25], v[10:11]
	v_lshl_add_u64 v[8:9], v[8:9], 0, s[38:39]
	v_lshl_add_u64 v[12:13], v[12:13], 2, s[20:21]
	s_or_b64 s[40:41], vcc, s[40:41]
	s_waitcnt vmcnt(1)
	v_lshrrev_b32_e32 v0, v0, v15
	v_lshrrev_b32_e32 v15, v17, v15
	v_lshlrev_b32_e32 v0, 4, v0
	s_waitcnt vmcnt(0)
	v_and_b32_e32 v17, 15, v16
	v_lshrrev_b16_e32 v16, 4, v16
	v_and_or_b32 v0, v0, 16, v17
	v_and_or_b32 v15, v15, 16, v16
	v_cvt_f32_ubyte0_e32 v0, v0
	v_cvt_f32_ubyte0_e32 v15, v15
	v_fma_mix_f32 v0, v14, v0, v14 op_sel:[0,0,1] op_sel_hi:[1,0,1]
	v_fma_mix_f32 v14, v14, v15, v14 op_sel:[0,0,1] op_sel_hi:[1,0,1]
	global_store_dword v[12:13], v0, off
	global_store_dword v[12:13], v14, off offset:64
	s_andn2_b64 exec, exec, s[40:41]
	s_cbranch_execnz .LBB8_5
	s_branch .LBB8_2
.LBB8_6:
	s_endpgm
	.section	.rodata,"a",@progbits
	.p2align	6, 0x0
	.amdhsa_kernel _ZL10k_get_rowsILi32ELi2EXadL_ZL15dequantize_q5_1PKvliR15HIP_vector_typeIfLj2EEEEfEvS1_PKiPT2_llS2_IjLj3EEmmmmmmmmm
		.amdhsa_group_segment_fixed_size 0
		.amdhsa_private_segment_fixed_size 0
		.amdhsa_kernarg_size 384
		.amdhsa_user_sgpr_count 2
		.amdhsa_user_sgpr_dispatch_ptr 0
		.amdhsa_user_sgpr_queue_ptr 0
		.amdhsa_user_sgpr_kernarg_segment_ptr 1
		.amdhsa_user_sgpr_dispatch_id 0
		.amdhsa_user_sgpr_kernarg_preload_length 0
		.amdhsa_user_sgpr_kernarg_preload_offset 0
		.amdhsa_user_sgpr_private_segment_size 0
		.amdhsa_uses_dynamic_stack 0
		.amdhsa_enable_private_segment 0
		.amdhsa_system_sgpr_workgroup_id_x 1
		.amdhsa_system_sgpr_workgroup_id_y 1
		.amdhsa_system_sgpr_workgroup_id_z 1
		.amdhsa_system_sgpr_workgroup_info 0
		.amdhsa_system_vgpr_workitem_id 0
		.amdhsa_next_free_vgpr 18
		.amdhsa_next_free_sgpr 50
		.amdhsa_accum_offset 20
		.amdhsa_reserve_vcc 1
		.amdhsa_float_round_mode_32 0
		.amdhsa_float_round_mode_16_64 0
		.amdhsa_float_denorm_mode_32 3
		.amdhsa_float_denorm_mode_16_64 3
		.amdhsa_dx10_clamp 1
		.amdhsa_ieee_mode 1
		.amdhsa_fp16_overflow 0
		.amdhsa_tg_split 0
		.amdhsa_exception_fp_ieee_invalid_op 0
		.amdhsa_exception_fp_denorm_src 0
		.amdhsa_exception_fp_ieee_div_zero 0
		.amdhsa_exception_fp_ieee_overflow 0
		.amdhsa_exception_fp_ieee_underflow 0
		.amdhsa_exception_fp_ieee_inexact 0
		.amdhsa_exception_int_div_zero 0
	.end_amdhsa_kernel
	.section	.text._ZL10k_get_rowsILi32ELi2EXadL_ZL15dequantize_q5_1PKvliR15HIP_vector_typeIfLj2EEEEfEvS1_PKiPT2_llS2_IjLj3EEmmmmmmmmm,"axG",@progbits,_ZL10k_get_rowsILi32ELi2EXadL_ZL15dequantize_q5_1PKvliR15HIP_vector_typeIfLj2EEEEfEvS1_PKiPT2_llS2_IjLj3EEmmmmmmmmm,comdat
.Lfunc_end8:
	.size	_ZL10k_get_rowsILi32ELi2EXadL_ZL15dequantize_q5_1PKvliR15HIP_vector_typeIfLj2EEEEfEvS1_PKiPT2_llS2_IjLj3EEmmmmmmmmm, .Lfunc_end8-_ZL10k_get_rowsILi32ELi2EXadL_ZL15dequantize_q5_1PKvliR15HIP_vector_typeIfLj2EEEEfEvS1_PKiPT2_llS2_IjLj3EEmmmmmmmmm
                                        ; -- End function
	.set _ZL10k_get_rowsILi32ELi2EXadL_ZL15dequantize_q5_1PKvliR15HIP_vector_typeIfLj2EEEEfEvS1_PKiPT2_llS2_IjLj3EEmmmmmmmmm.num_vgpr, 18
	.set _ZL10k_get_rowsILi32ELi2EXadL_ZL15dequantize_q5_1PKvliR15HIP_vector_typeIfLj2EEEEfEvS1_PKiPT2_llS2_IjLj3EEmmmmmmmmm.num_agpr, 0
	.set _ZL10k_get_rowsILi32ELi2EXadL_ZL15dequantize_q5_1PKvliR15HIP_vector_typeIfLj2EEEEfEvS1_PKiPT2_llS2_IjLj3EEmmmmmmmmm.numbered_sgpr, 50
	.set _ZL10k_get_rowsILi32ELi2EXadL_ZL15dequantize_q5_1PKvliR15HIP_vector_typeIfLj2EEEEfEvS1_PKiPT2_llS2_IjLj3EEmmmmmmmmm.num_named_barrier, 0
	.set _ZL10k_get_rowsILi32ELi2EXadL_ZL15dequantize_q5_1PKvliR15HIP_vector_typeIfLj2EEEEfEvS1_PKiPT2_llS2_IjLj3EEmmmmmmmmm.private_seg_size, 0
	.set _ZL10k_get_rowsILi32ELi2EXadL_ZL15dequantize_q5_1PKvliR15HIP_vector_typeIfLj2EEEEfEvS1_PKiPT2_llS2_IjLj3EEmmmmmmmmm.uses_vcc, 1
	.set _ZL10k_get_rowsILi32ELi2EXadL_ZL15dequantize_q5_1PKvliR15HIP_vector_typeIfLj2EEEEfEvS1_PKiPT2_llS2_IjLj3EEmmmmmmmmm.uses_flat_scratch, 0
	.set _ZL10k_get_rowsILi32ELi2EXadL_ZL15dequantize_q5_1PKvliR15HIP_vector_typeIfLj2EEEEfEvS1_PKiPT2_llS2_IjLj3EEmmmmmmmmm.has_dyn_sized_stack, 0
	.set _ZL10k_get_rowsILi32ELi2EXadL_ZL15dequantize_q5_1PKvliR15HIP_vector_typeIfLj2EEEEfEvS1_PKiPT2_llS2_IjLj3EEmmmmmmmmm.has_recursion, 0
	.set _ZL10k_get_rowsILi32ELi2EXadL_ZL15dequantize_q5_1PKvliR15HIP_vector_typeIfLj2EEEEfEvS1_PKiPT2_llS2_IjLj3EEmmmmmmmmm.has_indirect_call, 0
	.section	.AMDGPU.csdata,"",@progbits
; Kernel info:
; codeLenInByte = 784
; TotalNumSgprs: 56
; NumVgprs: 18
; NumAgprs: 0
; TotalNumVgprs: 18
; ScratchSize: 0
; MemoryBound: 0
; FloatMode: 240
; IeeeMode: 1
; LDSByteSize: 0 bytes/workgroup (compile time only)
; SGPRBlocks: 6
; VGPRBlocks: 2
; NumSGPRsForWavesPerEU: 56
; NumVGPRsForWavesPerEU: 18
; AccumOffset: 20
; Occupancy: 8
; WaveLimiterHint : 1
; COMPUTE_PGM_RSRC2:SCRATCH_EN: 0
; COMPUTE_PGM_RSRC2:USER_SGPR: 2
; COMPUTE_PGM_RSRC2:TRAP_HANDLER: 0
; COMPUTE_PGM_RSRC2:TGID_X_EN: 1
; COMPUTE_PGM_RSRC2:TGID_Y_EN: 1
; COMPUTE_PGM_RSRC2:TGID_Z_EN: 1
; COMPUTE_PGM_RSRC2:TIDIG_COMP_CNT: 0
; COMPUTE_PGM_RSRC3_GFX90A:ACCUM_OFFSET: 4
; COMPUTE_PGM_RSRC3_GFX90A:TG_SPLIT: 0
	.section	.text._ZL10k_get_rowsILi32ELi1EXadL_ZL15dequantize_q8_0PKvliR15HIP_vector_typeIfLj2EEEEfEvS1_PKiPT2_llS2_IjLj3EEmmmmmmmmm,"axG",@progbits,_ZL10k_get_rowsILi32ELi1EXadL_ZL15dequantize_q8_0PKvliR15HIP_vector_typeIfLj2EEEEfEvS1_PKiPT2_llS2_IjLj3EEmmmmmmmmm,comdat
	.globl	_ZL10k_get_rowsILi32ELi1EXadL_ZL15dequantize_q8_0PKvliR15HIP_vector_typeIfLj2EEEEfEvS1_PKiPT2_llS2_IjLj3EEmmmmmmmmm ; -- Begin function _ZL10k_get_rowsILi32ELi1EXadL_ZL15dequantize_q8_0PKvliR15HIP_vector_typeIfLj2EEEEfEvS1_PKiPT2_llS2_IjLj3EEmmmmmmmmm
	.p2align	8
	.type	_ZL10k_get_rowsILi32ELi1EXadL_ZL15dequantize_q8_0PKvliR15HIP_vector_typeIfLj2EEEEfEvS1_PKiPT2_llS2_IjLj3EEmmmmmmmmm,@function
_ZL10k_get_rowsILi32ELi1EXadL_ZL15dequantize_q8_0PKvliR15HIP_vector_typeIfLj2EEEEfEvS1_PKiPT2_llS2_IjLj3EEmmmmmmmmm: ; @_ZL10k_get_rowsILi32ELi1EXadL_ZL15dequantize_q8_0PKvliR15HIP_vector_typeIfLj2EEEEfEvS1_PKiPT2_llS2_IjLj3EEmmmmmmmmm
; %bb.0:
	s_load_dwordx4 s[24:27], s[0:1], 0x18
	s_load_dwordx2 s[6:7], s[0:1], 0x2c
	s_mov_b32 s5, 0
	v_mov_b64_e32 v[2:3], s[4:5]
	s_waitcnt lgkmcnt(0)
	s_mul_i32 s8, s27, s7
	s_mul_hi_u32 s9, s26, s7
	s_add_i32 s39, s9, s8
	s_mul_i32 s38, s26, s7
	v_cmp_le_i64_e32 vcc, s[38:39], v[2:3]
	s_cbranch_vccnz .LBB9_6
; %bb.1:
	s_load_dwordx4 s[28:31], s[0:1], 0x0
	s_load_dwordx2 s[40:41], s[0:1], 0x10
	s_load_dwordx2 s[26:27], s[0:1], 0x78
	;; [unrolled: 1-line block ×3, first 2 shown]
	s_load_dword s33, s[0:1], 0x28
	s_load_dwordx16 s[8:23], s[0:1], 0x38
	s_add_u32 s36, s0, 0x80
	s_addc_u32 s37, s1, 0
	s_waitcnt lgkmcnt(0)
	s_and_b32 s35, s35, 0xffff
	s_mul_i32 s3, s3, s35
	v_add_lshl_u32 v0, s3, v0, 1
	s_ashr_i32 s3, s2, 31
	s_mul_hi_u32 s42, s20, s2
	s_mul_i32 s43, s20, s3
	s_add_i32 s42, s42, s43
	s_mul_i32 s21, s21, s2
	s_add_i32 s21, s42, s21
	s_mul_i32 s20, s20, s2
	s_lshl_b64 s[20:21], s[20:21], 2
	s_add_u32 s44, s30, s20
	s_mul_hi_u32 s20, s8, s2
	s_mul_i32 s3, s8, s3
	s_addc_u32 s45, s31, s21
	s_add_i32 s3, s20, s3
	s_mul_i32 s9, s9, s2
	s_add_i32 s3, s3, s9
	s_mul_i32 s2, s8, s2
	s_lshl_b64 s[2:3], s[2:3], 2
	v_mov_b32_e32 v1, 0
	s_add_u32 s46, s40, s2
	v_mov_b64_e32 v[2:3], v[0:1]
	v_cmp_gt_i64_e64 s[0:1], s[24:25], v[0:1]
	s_addc_u32 s47, s41, s3
	v_lshlrev_b64 v[4:5], 27, v[0:1]
	v_mov_b32_e32 v6, v1
	v_mov_b32_e32 v7, v0
	v_mov_b64_e32 v[8:9], s[38:39]
	s_mov_b64 s[2:3], s[4:5]
	s_branch .LBB9_3
.LBB9_2:                                ;   in Loop: Header=BB9_3 Depth=1
	s_or_b64 exec, exec, s[8:9]
	s_add_u32 s2, s2, s34
	s_addc_u32 s3, s3, 0
	v_cmp_ge_i64_e32 vcc, s[2:3], v[8:9]
	s_cbranch_vccnz .LBB9_6
.LBB9_3:                                ; =>This Loop Header: Depth=1
                                        ;     Child Loop BB9_5 Depth 2
	s_and_saveexec_b64 s[8:9], s[0:1]
	s_cbranch_execz .LBB9_2
; %bb.4:                                ;   in Loop: Header=BB9_3 Depth=1
	s_mul_hi_u32 s4, s2, s33
	s_add_i32 s4, s4, s2
	s_lshr_b32 s4, s4, s6
	s_mul_i32 s20, s4, s7
	s_sub_i32 s38, s2, s20
	s_ashr_i32 s39, s4, 31
	s_mul_i32 s20, s22, s39
	s_mul_hi_u32 s21, s22, s4
	s_ashr_i32 s40, s38, 31
	s_add_i32 s20, s21, s20
	s_mul_i32 s21, s23, s4
	s_mul_i32 s30, s26, s40
	s_mul_hi_u32 s31, s26, s38
	s_add_i32 s21, s20, s21
	s_mul_i32 s20, s22, s4
	s_add_i32 s30, s31, s30
	s_mul_i32 s31, s27, s38
	s_add_i32 s31, s30, s31
	s_lshl_b64 s[20:21], s[20:21], 2
	s_mul_i32 s30, s26, s38
	s_add_u32 s41, s44, s20
	s_addc_u32 s42, s45, s21
	s_lshl_b64 s[20:21], s[30:31], 2
	s_add_u32 s20, s41, s20
	s_addc_u32 s21, s42, s21
	s_load_dword s30, s[20:21], 0x0
	s_mul_i32 s20, s10, s39
	s_mul_hi_u32 s21, s10, s4
	s_add_i32 s20, s21, s20
	s_mul_i32 s21, s11, s4
	s_add_i32 s21, s20, s21
	s_mul_i32 s20, s10, s4
	s_waitcnt lgkmcnt(0)
	s_ashr_i32 s31, s30, 31
	s_lshl_b64 s[20:21], s[20:21], 2
	s_add_u32 s41, s46, s20
	s_addc_u32 s42, s47, s21
	s_mul_i32 s20, s12, s40
	s_mul_hi_u32 s21, s12, s38
	s_add_i32 s20, s21, s20
	s_mul_i32 s21, s13, s38
	s_add_i32 s21, s20, s21
	s_mul_i32 s20, s12, s38
	s_lshl_b64 s[20:21], s[20:21], 2
	s_add_u32 s20, s41, s20
	s_mul_i32 s31, s14, s31
	s_mul_hi_u32 s41, s14, s30
	s_addc_u32 s21, s42, s21
	s_add_i32 s31, s41, s31
	s_mul_i32 s41, s15, s30
	s_add_i32 s31, s31, s41
	s_mul_i32 s30, s14, s30
	s_add_u32 s30, s28, s30
	s_mul_i32 s39, s16, s39
	s_mul_hi_u32 s41, s16, s4
	s_addc_u32 s31, s29, s31
	s_add_i32 s39, s41, s39
	s_mul_i32 s41, s17, s4
	s_add_i32 s39, s39, s41
	s_mul_i32 s4, s16, s4
	s_add_u32 s4, s30, s4
	s_mul_i32 s30, s18, s40
	s_load_dword s40, s[36:37], 0x4
	s_addc_u32 s31, s31, s39
	s_mul_hi_u32 s39, s18, s38
	s_add_i32 s30, s39, s30
	s_mul_i32 s39, s19, s38
	s_add_i32 s39, s30, s39
	s_mul_i32 s30, s18, s38
	s_add_u32 s30, s4, s30
	s_waitcnt lgkmcnt(0)
	s_mul_i32 s4, s40, s35
	s_addc_u32 s31, s31, s39
	s_lshl_b64 s[38:39], s[4:5], 27
	s_mov_b32 s40, s5
	s_mov_b32 s41, s4
	s_mov_b64 s[42:43], 0
	v_mov_b64_e32 v[10:11], v[6:7]
	v_mov_b64_e32 v[12:13], v[4:5]
	;; [unrolled: 1-line block ×3, first 2 shown]
.LBB9_5:                                ;   Parent Loop BB9_3 Depth=1
                                        ; =>  This Inner Loop Header: Depth=2
	v_mad_i64_i32 v[16:17], s[48:49], v13, 34, s[30:31]
	v_and_b32_e32 v0, 31, v14
	v_lshl_add_u64 v[18:19], v[16:17], 0, v[0:1]
	global_load_ushort v0, v[16:17], off
	global_load_ushort v20, v[18:19], off offset:2
	v_lshl_add_u64 v[14:15], v[14:15], 0, s[4:5]
	v_ashrrev_i64 v[16:17], 30, v[10:11]
	v_cmp_le_i64_e32 vcc, s[24:25], v[14:15]
	v_lshl_add_u64 v[12:13], v[12:13], 0, s[38:39]
	v_lshl_add_u64 v[10:11], v[10:11], 0, s[40:41]
	;; [unrolled: 1-line block ×3, first 2 shown]
	s_or_b64 s[42:43], vcc, s[42:43]
	s_waitcnt vmcnt(1)
	v_cvt_f32_f16_e32 v0, v0
	s_waitcnt vmcnt(0)
	v_bfe_i32 v18, v20, 0, 8
	v_ashrrev_i16_e32 v19, 8, v20
	v_cvt_f32_i32_sdwa v19, sext(v19) dst_sel:DWORD dst_unused:UNUSED_PAD src0_sel:WORD_0
	v_cvt_f32_i32_sdwa v18, sext(v18) dst_sel:DWORD dst_unused:UNUSED_PAD src0_sel:WORD_0
	v_pk_mul_f32 v[18:19], v[0:1], v[18:19] op_sel_hi:[0,1]
	global_store_dwordx2 v[16:17], v[18:19], off
	s_andn2_b64 exec, exec, s[42:43]
	s_cbranch_execnz .LBB9_5
	s_branch .LBB9_2
.LBB9_6:
	s_endpgm
	.section	.rodata,"a",@progbits
	.p2align	6, 0x0
	.amdhsa_kernel _ZL10k_get_rowsILi32ELi1EXadL_ZL15dequantize_q8_0PKvliR15HIP_vector_typeIfLj2EEEEfEvS1_PKiPT2_llS2_IjLj3EEmmmmmmmmm
		.amdhsa_group_segment_fixed_size 0
		.amdhsa_private_segment_fixed_size 0
		.amdhsa_kernarg_size 384
		.amdhsa_user_sgpr_count 2
		.amdhsa_user_sgpr_dispatch_ptr 0
		.amdhsa_user_sgpr_queue_ptr 0
		.amdhsa_user_sgpr_kernarg_segment_ptr 1
		.amdhsa_user_sgpr_dispatch_id 0
		.amdhsa_user_sgpr_kernarg_preload_length 0
		.amdhsa_user_sgpr_kernarg_preload_offset 0
		.amdhsa_user_sgpr_private_segment_size 0
		.amdhsa_uses_dynamic_stack 0
		.amdhsa_enable_private_segment 0
		.amdhsa_system_sgpr_workgroup_id_x 1
		.amdhsa_system_sgpr_workgroup_id_y 1
		.amdhsa_system_sgpr_workgroup_id_z 1
		.amdhsa_system_sgpr_workgroup_info 0
		.amdhsa_system_vgpr_workitem_id 0
		.amdhsa_next_free_vgpr 21
		.amdhsa_next_free_sgpr 50
		.amdhsa_accum_offset 24
		.amdhsa_reserve_vcc 1
		.amdhsa_float_round_mode_32 0
		.amdhsa_float_round_mode_16_64 0
		.amdhsa_float_denorm_mode_32 3
		.amdhsa_float_denorm_mode_16_64 3
		.amdhsa_dx10_clamp 1
		.amdhsa_ieee_mode 1
		.amdhsa_fp16_overflow 0
		.amdhsa_tg_split 0
		.amdhsa_exception_fp_ieee_invalid_op 0
		.amdhsa_exception_fp_denorm_src 0
		.amdhsa_exception_fp_ieee_div_zero 0
		.amdhsa_exception_fp_ieee_overflow 0
		.amdhsa_exception_fp_ieee_underflow 0
		.amdhsa_exception_fp_ieee_inexact 0
		.amdhsa_exception_int_div_zero 0
	.end_amdhsa_kernel
	.section	.text._ZL10k_get_rowsILi32ELi1EXadL_ZL15dequantize_q8_0PKvliR15HIP_vector_typeIfLj2EEEEfEvS1_PKiPT2_llS2_IjLj3EEmmmmmmmmm,"axG",@progbits,_ZL10k_get_rowsILi32ELi1EXadL_ZL15dequantize_q8_0PKvliR15HIP_vector_typeIfLj2EEEEfEvS1_PKiPT2_llS2_IjLj3EEmmmmmmmmm,comdat
.Lfunc_end9:
	.size	_ZL10k_get_rowsILi32ELi1EXadL_ZL15dequantize_q8_0PKvliR15HIP_vector_typeIfLj2EEEEfEvS1_PKiPT2_llS2_IjLj3EEmmmmmmmmm, .Lfunc_end9-_ZL10k_get_rowsILi32ELi1EXadL_ZL15dequantize_q8_0PKvliR15HIP_vector_typeIfLj2EEEEfEvS1_PKiPT2_llS2_IjLj3EEmmmmmmmmm
                                        ; -- End function
	.set _ZL10k_get_rowsILi32ELi1EXadL_ZL15dequantize_q8_0PKvliR15HIP_vector_typeIfLj2EEEEfEvS1_PKiPT2_llS2_IjLj3EEmmmmmmmmm.num_vgpr, 21
	.set _ZL10k_get_rowsILi32ELi1EXadL_ZL15dequantize_q8_0PKvliR15HIP_vector_typeIfLj2EEEEfEvS1_PKiPT2_llS2_IjLj3EEmmmmmmmmm.num_agpr, 0
	.set _ZL10k_get_rowsILi32ELi1EXadL_ZL15dequantize_q8_0PKvliR15HIP_vector_typeIfLj2EEEEfEvS1_PKiPT2_llS2_IjLj3EEmmmmmmmmm.numbered_sgpr, 50
	.set _ZL10k_get_rowsILi32ELi1EXadL_ZL15dequantize_q8_0PKvliR15HIP_vector_typeIfLj2EEEEfEvS1_PKiPT2_llS2_IjLj3EEmmmmmmmmm.num_named_barrier, 0
	.set _ZL10k_get_rowsILi32ELi1EXadL_ZL15dequantize_q8_0PKvliR15HIP_vector_typeIfLj2EEEEfEvS1_PKiPT2_llS2_IjLj3EEmmmmmmmmm.private_seg_size, 0
	.set _ZL10k_get_rowsILi32ELi1EXadL_ZL15dequantize_q8_0PKvliR15HIP_vector_typeIfLj2EEEEfEvS1_PKiPT2_llS2_IjLj3EEmmmmmmmmm.uses_vcc, 1
	.set _ZL10k_get_rowsILi32ELi1EXadL_ZL15dequantize_q8_0PKvliR15HIP_vector_typeIfLj2EEEEfEvS1_PKiPT2_llS2_IjLj3EEmmmmmmmmm.uses_flat_scratch, 0
	.set _ZL10k_get_rowsILi32ELi1EXadL_ZL15dequantize_q8_0PKvliR15HIP_vector_typeIfLj2EEEEfEvS1_PKiPT2_llS2_IjLj3EEmmmmmmmmm.has_dyn_sized_stack, 0
	.set _ZL10k_get_rowsILi32ELi1EXadL_ZL15dequantize_q8_0PKvliR15HIP_vector_typeIfLj2EEEEfEvS1_PKiPT2_llS2_IjLj3EEmmmmmmmmm.has_recursion, 0
	.set _ZL10k_get_rowsILi32ELi1EXadL_ZL15dequantize_q8_0PKvliR15HIP_vector_typeIfLj2EEEEfEvS1_PKiPT2_llS2_IjLj3EEmmmmmmmmm.has_indirect_call, 0
	.section	.AMDGPU.csdata,"",@progbits
; Kernel info:
; codeLenInByte = 768
; TotalNumSgprs: 56
; NumVgprs: 21
; NumAgprs: 0
; TotalNumVgprs: 21
; ScratchSize: 0
; MemoryBound: 0
; FloatMode: 240
; IeeeMode: 1
; LDSByteSize: 0 bytes/workgroup (compile time only)
; SGPRBlocks: 6
; VGPRBlocks: 2
; NumSGPRsForWavesPerEU: 56
; NumVGPRsForWavesPerEU: 21
; AccumOffset: 24
; Occupancy: 8
; WaveLimiterHint : 1
; COMPUTE_PGM_RSRC2:SCRATCH_EN: 0
; COMPUTE_PGM_RSRC2:USER_SGPR: 2
; COMPUTE_PGM_RSRC2:TRAP_HANDLER: 0
; COMPUTE_PGM_RSRC2:TGID_X_EN: 1
; COMPUTE_PGM_RSRC2:TGID_Y_EN: 1
; COMPUTE_PGM_RSRC2:TGID_Z_EN: 1
; COMPUTE_PGM_RSRC2:TIDIG_COMP_CNT: 0
; COMPUTE_PGM_RSRC3_GFX90A:ACCUM_OFFSET: 5
; COMPUTE_PGM_RSRC3_GFX90A:TG_SPLIT: 0
	.section	.text._ZL16k_get_rows_floatI6__halfiEvPKT_PKiPT0_ll15HIP_vector_typeIjLj3EEmmmmmmmmm,"axG",@progbits,_ZL16k_get_rows_floatI6__halfiEvPKT_PKiPT0_ll15HIP_vector_typeIjLj3EEmmmmmmmmm,comdat
	.globl	_ZL16k_get_rows_floatI6__halfiEvPKT_PKiPT0_ll15HIP_vector_typeIjLj3EEmmmmmmmmm ; -- Begin function _ZL16k_get_rows_floatI6__halfiEvPKT_PKiPT0_ll15HIP_vector_typeIjLj3EEmmmmmmmmm
	.p2align	8
	.type	_ZL16k_get_rows_floatI6__halfiEvPKT_PKiPT0_ll15HIP_vector_typeIjLj3EEmmmmmmmmm,@function
_ZL16k_get_rows_floatI6__halfiEvPKT_PKiPT0_ll15HIP_vector_typeIjLj3EEmmmmmmmmm: ; @_ZL16k_get_rows_floatI6__halfiEvPKT_PKiPT0_ll15HIP_vector_typeIjLj3EEmmmmmmmmm
; %bb.0:
	s_load_dwordx2 s[8:9], s[0:1], 0x20
	s_load_dwordx2 s[6:7], s[0:1], 0x2c
	s_mov_b32 s5, 0
	v_mov_b64_e32 v[2:3], s[4:5]
	s_waitcnt lgkmcnt(0)
	s_mul_i32 s9, s9, s7
	s_mul_hi_u32 s10, s8, s7
	s_add_i32 s39, s10, s9
	s_mul_i32 s38, s8, s7
	v_cmp_le_i64_e32 vcc, s[38:39], v[2:3]
	s_cbranch_vccnz .LBB10_6
; %bb.1:
	s_load_dwordx8 s[24:31], s[0:1], 0x0
	s_load_dword s33, s[0:1], 0x28
	s_load_dwordx2 s[34:35], s[0:1], 0x78
	s_load_dwordx2 s[36:37], s[0:1], 0x88
	s_load_dwordx16 s[8:23], s[0:1], 0x38
	s_waitcnt lgkmcnt(0)
	v_mov_b32_e32 v4, s24
	s_add_u32 s24, s0, 0x80
	v_mov_b32_e32 v5, s25
	s_addc_u32 s25, s1, 0
	s_and_b32 s37, s37, 0xffff
	s_mul_i32 s3, s3, s37
	v_add_u32_e32 v0, s3, v0
	s_ashr_i32 s3, s2, 31
	s_mul_hi_u32 s40, s20, s2
	s_mul_i32 s41, s20, s3
	s_add_i32 s40, s40, s41
	s_mul_i32 s21, s21, s2
	s_add_i32 s21, s40, s21
	s_mul_i32 s20, s20, s2
	s_lshl_b64 s[20:21], s[20:21], 2
	s_add_u32 s40, s26, s20
	s_mul_hi_u32 s20, s8, s2
	s_mul_i32 s3, s8, s3
	s_addc_u32 s41, s27, s21
	s_add_i32 s3, s20, s3
	s_mul_i32 s9, s9, s2
	s_add_i32 s3, s3, s9
	s_mul_i32 s2, s8, s2
	s_lshl_b64 s[2:3], s[2:3], 2
	s_add_u32 s2, s28, s2
	v_mov_b32_e32 v1, 0
	s_addc_u32 s3, s29, s3
	v_cmp_gt_i64_e64 s[0:1], s[30:31], v[0:1]
	v_lshl_add_u64 v[2:3], v[0:1], 2, s[2:3]
	s_lshl_b64 s[2:3], s[10:11], 2
	s_lshl_b64 s[8:9], s[12:13], 2
	v_lshl_add_u64 v[4:5], v[0:1], 1, v[4:5]
	v_mov_b64_e32 v[6:7], s[38:39]
	s_mov_b64 s[10:11], s[4:5]
	s_branch .LBB10_3
.LBB10_2:                               ;   in Loop: Header=BB10_3 Depth=1
	s_or_b64 exec, exec, s[12:13]
	s_add_u32 s10, s10, s36
	s_addc_u32 s11, s11, 0
	v_cmp_lt_i64_e32 vcc, s[10:11], v[6:7]
	s_cbranch_vccz .LBB10_6
.LBB10_3:                               ; =>This Loop Header: Depth=1
                                        ;     Child Loop BB10_5 Depth 2
	s_and_saveexec_b64 s[12:13], s[0:1]
	s_cbranch_execz .LBB10_2
; %bb.4:                                ;   in Loop: Header=BB10_3 Depth=1
	s_mul_hi_u32 s4, s10, s33
	s_add_i32 s4, s4, s10
	s_lshr_b32 s28, s4, s6
	s_mul_i32 s4, s28, s7
	s_ashr_i32 s38, s28, 31
	s_sub_i32 s29, s10, s4
	s_mul_i32 s4, s22, s38
	s_mul_hi_u32 s20, s22, s28
	s_add_i32 s4, s20, s4
	s_mul_i32 s20, s23, s28
	s_ashr_i32 s39, s29, 31
	s_add_i32 s21, s4, s20
	s_mul_i32 s4, s34, s39
	s_mul_hi_u32 s26, s34, s29
	s_mul_i32 s20, s22, s28
	s_add_i32 s4, s26, s4
	s_mul_i32 s26, s35, s29
	s_add_i32 s27, s4, s26
	s_lshl_b64 s[20:21], s[20:21], 2
	s_mul_i32 s26, s34, s29
	s_add_u32 s4, s40, s20
	s_addc_u32 s42, s41, s21
	s_lshl_b64 s[20:21], s[26:27], 2
	s_load_dword s27, s[24:25], 0x4
	s_add_u32 s20, s4, s20
	s_mul_i32 s4, s16, s38
	s_mul_hi_u32 s26, s16, s28
	s_addc_u32 s21, s42, s21
	s_add_i32 s4, s26, s4
	s_mul_i32 s26, s17, s28
	s_add_i32 s42, s4, s26
	s_waitcnt lgkmcnt(0)
	s_mul_i32 s4, s27, s37
	s_mul_i32 s26, s2, s38
	s_mul_hi_u32 s27, s2, s28
	s_add_i32 s26, s27, s26
	s_mul_i32 s27, s3, s28
	s_mul_i32 s43, s16, s28
	s_add_i32 s27, s26, s27
	s_mul_i32 s26, s2, s28
	s_mul_i32 s28, s8, s39
	s_mul_hi_u32 s38, s8, s29
	s_add_i32 s28, s38, s28
	s_mul_i32 s38, s9, s29
	s_add_i32 s28, s28, s38
	s_mul_i32 s38, s8, s29
	s_add_u32 s26, s26, s38
	s_addc_u32 s27, s27, s28
	s_mul_i32 s28, s18, s39
	s_mul_hi_u32 s38, s18, s29
	s_add_i32 s28, s38, s28
	s_mul_i32 s38, s19, s29
	v_lshl_add_u64 v[8:9], v[2:3], 0, s[26:27]
	s_lshl_b64 s[26:27], s[4:5], 2
	s_add_i32 s38, s28, s38
	s_mul_i32 s28, s18, s29
	s_add_u32 s28, s43, s28
	s_addc_u32 s29, s42, s38
	v_lshl_add_u64 v[10:11], v[4:5], 0, s[28:29]
	s_lshl_b64 s[28:29], s[4:5], 1
	s_mov_b64 s[38:39], 0
	v_mov_b64_e32 v[12:13], v[0:1]
.LBB10_5:                               ;   Parent Loop BB10_3 Depth=1
                                        ; =>  This Inner Loop Header: Depth=2
	global_load_dword v14, v1, s[20:21]
	v_lshl_add_u64 v[12:13], v[12:13], 0, s[4:5]
	v_cmp_le_i64_e32 vcc, s[30:31], v[12:13]
	s_or_b64 s[38:39], vcc, s[38:39]
	s_waitcnt vmcnt(0)
	v_ashrrev_i32_e32 v16, 31, v14
	v_mul_lo_u32 v17, s15, v14
	v_mul_lo_u32 v16, s14, v16
	v_mad_u64_u32 v[14:15], s[42:43], s14, v14, v[10:11]
	v_add_u32_e32 v16, v16, v17
	v_add_u32_e32 v15, v16, v15
	global_load_ushort v14, v[14:15], off
	v_lshl_add_u64 v[10:11], v[10:11], 0, s[28:29]
	s_waitcnt vmcnt(0)
	v_cvt_f32_f16_e32 v14, v14
	v_cvt_i32_f32_e32 v14, v14
	global_store_dword v[8:9], v14, off
	v_lshl_add_u64 v[8:9], v[8:9], 0, s[26:27]
	s_andn2_b64 exec, exec, s[38:39]
	s_cbranch_execnz .LBB10_5
	s_branch .LBB10_2
.LBB10_6:
	s_endpgm
	.section	.rodata,"a",@progbits
	.p2align	6, 0x0
	.amdhsa_kernel _ZL16k_get_rows_floatI6__halfiEvPKT_PKiPT0_ll15HIP_vector_typeIjLj3EEmmmmmmmmm
		.amdhsa_group_segment_fixed_size 0
		.amdhsa_private_segment_fixed_size 0
		.amdhsa_kernarg_size 384
		.amdhsa_user_sgpr_count 2
		.amdhsa_user_sgpr_dispatch_ptr 0
		.amdhsa_user_sgpr_queue_ptr 0
		.amdhsa_user_sgpr_kernarg_segment_ptr 1
		.amdhsa_user_sgpr_dispatch_id 0
		.amdhsa_user_sgpr_kernarg_preload_length 0
		.amdhsa_user_sgpr_kernarg_preload_offset 0
		.amdhsa_user_sgpr_private_segment_size 0
		.amdhsa_uses_dynamic_stack 0
		.amdhsa_enable_private_segment 0
		.amdhsa_system_sgpr_workgroup_id_x 1
		.amdhsa_system_sgpr_workgroup_id_y 1
		.amdhsa_system_sgpr_workgroup_id_z 1
		.amdhsa_system_sgpr_workgroup_info 0
		.amdhsa_system_vgpr_workitem_id 0
		.amdhsa_next_free_vgpr 18
		.amdhsa_next_free_sgpr 44
		.amdhsa_accum_offset 20
		.amdhsa_reserve_vcc 1
		.amdhsa_float_round_mode_32 0
		.amdhsa_float_round_mode_16_64 0
		.amdhsa_float_denorm_mode_32 3
		.amdhsa_float_denorm_mode_16_64 3
		.amdhsa_dx10_clamp 1
		.amdhsa_ieee_mode 1
		.amdhsa_fp16_overflow 0
		.amdhsa_tg_split 0
		.amdhsa_exception_fp_ieee_invalid_op 0
		.amdhsa_exception_fp_denorm_src 0
		.amdhsa_exception_fp_ieee_div_zero 0
		.amdhsa_exception_fp_ieee_overflow 0
		.amdhsa_exception_fp_ieee_underflow 0
		.amdhsa_exception_fp_ieee_inexact 0
		.amdhsa_exception_int_div_zero 0
	.end_amdhsa_kernel
	.section	.text._ZL16k_get_rows_floatI6__halfiEvPKT_PKiPT0_ll15HIP_vector_typeIjLj3EEmmmmmmmmm,"axG",@progbits,_ZL16k_get_rows_floatI6__halfiEvPKT_PKiPT0_ll15HIP_vector_typeIjLj3EEmmmmmmmmm,comdat
.Lfunc_end10:
	.size	_ZL16k_get_rows_floatI6__halfiEvPKT_PKiPT0_ll15HIP_vector_typeIjLj3EEmmmmmmmmm, .Lfunc_end10-_ZL16k_get_rows_floatI6__halfiEvPKT_PKiPT0_ll15HIP_vector_typeIjLj3EEmmmmmmmmm
                                        ; -- End function
	.set _ZL16k_get_rows_floatI6__halfiEvPKT_PKiPT0_ll15HIP_vector_typeIjLj3EEmmmmmmmmm.num_vgpr, 18
	.set _ZL16k_get_rows_floatI6__halfiEvPKT_PKiPT0_ll15HIP_vector_typeIjLj3EEmmmmmmmmm.num_agpr, 0
	.set _ZL16k_get_rows_floatI6__halfiEvPKT_PKiPT0_ll15HIP_vector_typeIjLj3EEmmmmmmmmm.numbered_sgpr, 44
	.set _ZL16k_get_rows_floatI6__halfiEvPKT_PKiPT0_ll15HIP_vector_typeIjLj3EEmmmmmmmmm.num_named_barrier, 0
	.set _ZL16k_get_rows_floatI6__halfiEvPKT_PKiPT0_ll15HIP_vector_typeIjLj3EEmmmmmmmmm.private_seg_size, 0
	.set _ZL16k_get_rows_floatI6__halfiEvPKT_PKiPT0_ll15HIP_vector_typeIjLj3EEmmmmmmmmm.uses_vcc, 1
	.set _ZL16k_get_rows_floatI6__halfiEvPKT_PKiPT0_ll15HIP_vector_typeIjLj3EEmmmmmmmmm.uses_flat_scratch, 0
	.set _ZL16k_get_rows_floatI6__halfiEvPKT_PKiPT0_ll15HIP_vector_typeIjLj3EEmmmmmmmmm.has_dyn_sized_stack, 0
	.set _ZL16k_get_rows_floatI6__halfiEvPKT_PKiPT0_ll15HIP_vector_typeIjLj3EEmmmmmmmmm.has_recursion, 0
	.set _ZL16k_get_rows_floatI6__halfiEvPKT_PKiPT0_ll15HIP_vector_typeIjLj3EEmmmmmmmmm.has_indirect_call, 0
	.section	.AMDGPU.csdata,"",@progbits
; Kernel info:
; codeLenInByte = 668
; TotalNumSgprs: 50
; NumVgprs: 18
; NumAgprs: 0
; TotalNumVgprs: 18
; ScratchSize: 0
; MemoryBound: 0
; FloatMode: 240
; IeeeMode: 1
; LDSByteSize: 0 bytes/workgroup (compile time only)
; SGPRBlocks: 6
; VGPRBlocks: 2
; NumSGPRsForWavesPerEU: 50
; NumVGPRsForWavesPerEU: 18
; AccumOffset: 20
; Occupancy: 8
; WaveLimiterHint : 1
; COMPUTE_PGM_RSRC2:SCRATCH_EN: 0
; COMPUTE_PGM_RSRC2:USER_SGPR: 2
; COMPUTE_PGM_RSRC2:TRAP_HANDLER: 0
; COMPUTE_PGM_RSRC2:TGID_X_EN: 1
; COMPUTE_PGM_RSRC2:TGID_Y_EN: 1
; COMPUTE_PGM_RSRC2:TGID_Z_EN: 1
; COMPUTE_PGM_RSRC2:TIDIG_COMP_CNT: 0
; COMPUTE_PGM_RSRC3_GFX90A:ACCUM_OFFSET: 4
; COMPUTE_PGM_RSRC3_GFX90A:TG_SPLIT: 0
	.section	.text._ZL16k_get_rows_floatIfiEvPKT_PKiPT0_ll15HIP_vector_typeIjLj3EEmmmmmmmmm,"axG",@progbits,_ZL16k_get_rows_floatIfiEvPKT_PKiPT0_ll15HIP_vector_typeIjLj3EEmmmmmmmmm,comdat
	.globl	_ZL16k_get_rows_floatIfiEvPKT_PKiPT0_ll15HIP_vector_typeIjLj3EEmmmmmmmmm ; -- Begin function _ZL16k_get_rows_floatIfiEvPKT_PKiPT0_ll15HIP_vector_typeIjLj3EEmmmmmmmmm
	.p2align	8
	.type	_ZL16k_get_rows_floatIfiEvPKT_PKiPT0_ll15HIP_vector_typeIjLj3EEmmmmmmmmm,@function
_ZL16k_get_rows_floatIfiEvPKT_PKiPT0_ll15HIP_vector_typeIjLj3EEmmmmmmmmm: ; @_ZL16k_get_rows_floatIfiEvPKT_PKiPT0_ll15HIP_vector_typeIjLj3EEmmmmmmmmm
; %bb.0:
	s_load_dwordx2 s[8:9], s[0:1], 0x20
	s_load_dwordx2 s[6:7], s[0:1], 0x2c
	s_mov_b32 s5, 0
	v_mov_b64_e32 v[2:3], s[4:5]
	s_waitcnt lgkmcnt(0)
	s_mul_i32 s9, s9, s7
	s_mul_hi_u32 s10, s8, s7
	s_add_i32 s41, s10, s9
	s_mul_i32 s40, s8, s7
	v_cmp_le_i64_e32 vcc, s[40:41], v[2:3]
	s_cbranch_vccnz .LBB11_6
; %bb.1:
	s_load_dwordx8 s[24:31], s[0:1], 0x0
	s_load_dwordx2 s[34:35], s[0:1], 0x78
	s_load_dwordx2 s[36:37], s[0:1], 0x88
	s_load_dword s33, s[0:1], 0x28
	s_load_dwordx16 s[8:23], s[0:1], 0x38
	s_add_u32 s38, s0, 0x80
	s_addc_u32 s39, s1, 0
	s_waitcnt lgkmcnt(0)
	s_and_b32 s37, s37, 0xffff
	s_mul_i32 s3, s3, s37
	v_add_u32_e32 v0, s3, v0
	s_ashr_i32 s3, s2, 31
	s_mul_hi_u32 s42, s20, s2
	s_mul_i32 s43, s20, s3
	s_add_i32 s42, s42, s43
	s_mul_i32 s21, s21, s2
	s_add_i32 s21, s42, s21
	s_mul_i32 s20, s20, s2
	s_lshl_b64 s[20:21], s[20:21], 2
	s_add_u32 s42, s26, s20
	s_mul_hi_u32 s20, s8, s2
	s_mul_i32 s3, s8, s3
	s_addc_u32 s43, s27, s21
	s_add_i32 s3, s20, s3
	s_mul_i32 s9, s9, s2
	s_add_i32 s3, s3, s9
	s_mul_i32 s2, s8, s2
	s_lshl_b64 s[2:3], s[2:3], 2
	v_mov_b32_e32 v1, 0
	s_add_u32 s2, s28, s2
	v_lshlrev_b64 v[4:5], 2, v[0:1]
	s_addc_u32 s3, s29, s3
	v_cmp_gt_i64_e64 s[0:1], s[30:31], v[0:1]
	v_lshl_add_u64 v[2:3], s[2:3], 0, v[4:5]
	s_lshl_b64 s[2:3], s[10:11], 2
	s_lshl_b64 s[8:9], s[12:13], 2
	v_lshl_add_u64 v[4:5], s[24:25], 0, v[4:5]
	v_mov_b64_e32 v[6:7], s[40:41]
	s_mov_b64 s[10:11], s[4:5]
	s_branch .LBB11_3
.LBB11_2:                               ;   in Loop: Header=BB11_3 Depth=1
	s_or_b64 exec, exec, s[12:13]
	s_add_u32 s10, s10, s36
	s_addc_u32 s11, s11, 0
	v_cmp_lt_i64_e32 vcc, s[10:11], v[6:7]
	s_cbranch_vccz .LBB11_6
.LBB11_3:                               ; =>This Loop Header: Depth=1
                                        ;     Child Loop BB11_5 Depth 2
	s_and_saveexec_b64 s[12:13], s[0:1]
	s_cbranch_execz .LBB11_2
; %bb.4:                                ;   in Loop: Header=BB11_3 Depth=1
	s_mul_hi_u32 s4, s10, s33
	s_add_i32 s4, s4, s10
	s_lshr_b32 s26, s4, s6
	s_mul_i32 s4, s26, s7
	s_ashr_i32 s28, s26, 31
	s_sub_i32 s27, s10, s4
	s_mul_i32 s4, s22, s28
	s_mul_hi_u32 s20, s22, s26
	s_add_i32 s4, s20, s4
	s_mul_i32 s20, s23, s26
	s_ashr_i32 s29, s27, 31
	s_add_i32 s21, s4, s20
	s_mul_i32 s4, s34, s29
	s_mul_hi_u32 s24, s34, s27
	s_mul_i32 s20, s22, s26
	s_add_i32 s4, s24, s4
	s_mul_i32 s24, s35, s27
	s_add_i32 s25, s4, s24
	s_lshl_b64 s[20:21], s[20:21], 2
	s_mul_i32 s24, s34, s27
	s_add_u32 s4, s42, s20
	s_addc_u32 s40, s43, s21
	s_lshl_b64 s[20:21], s[24:25], 2
	s_load_dword s25, s[38:39], 0x4
	s_add_u32 s20, s4, s20
	s_mul_i32 s4, s16, s28
	s_mul_hi_u32 s24, s16, s26
	s_addc_u32 s21, s40, s21
	s_add_i32 s4, s24, s4
	s_mul_i32 s24, s17, s26
	s_add_i32 s40, s4, s24
	s_waitcnt lgkmcnt(0)
	s_mul_i32 s4, s25, s37
	s_mul_i32 s24, s2, s28
	s_mul_hi_u32 s25, s2, s26
	s_add_i32 s24, s25, s24
	s_mul_i32 s25, s3, s26
	s_mul_i32 s41, s16, s26
	s_add_i32 s25, s24, s25
	s_mul_i32 s24, s2, s26
	s_mul_i32 s26, s8, s29
	s_mul_hi_u32 s28, s8, s27
	s_add_i32 s26, s28, s26
	s_mul_i32 s28, s9, s27
	s_add_i32 s26, s26, s28
	s_mul_i32 s28, s8, s27
	s_add_u32 s24, s24, s28
	s_addc_u32 s25, s25, s26
	s_mul_i32 s26, s18, s29
	s_mul_hi_u32 s28, s18, s27
	s_add_i32 s26, s28, s26
	s_mul_i32 s28, s19, s27
	v_lshl_add_u64 v[8:9], v[2:3], 0, s[24:25]
	s_lshl_b64 s[24:25], s[4:5], 2
	s_add_i32 s28, s26, s28
	s_mul_i32 s26, s18, s27
	s_add_u32 s26, s41, s26
	s_addc_u32 s27, s40, s28
	v_lshl_add_u64 v[10:11], v[4:5], 0, s[26:27]
	s_mov_b64 s[26:27], 0
	s_mov_b64 s[28:29], 0
	v_mov_b64_e32 v[12:13], v[0:1]
.LBB11_5:                               ;   Parent Loop BB11_3 Depth=1
                                        ; =>  This Inner Loop Header: Depth=2
	global_load_dword v14, v1, s[20:21]
	v_lshl_add_u64 v[12:13], v[12:13], 0, s[4:5]
	v_cmp_le_i64_e32 vcc, s[30:31], v[12:13]
	s_waitcnt vmcnt(0)
	v_ashrrev_i32_e32 v15, 31, v14
	v_mul_hi_u32 v16, s14, v14
	v_mul_lo_u32 v15, s14, v15
	v_mul_lo_u32 v17, s15, v14
	v_add_u32_e32 v15, v16, v15
	v_mul_lo_u32 v14, s14, v14
	v_add_u32_e32 v15, v15, v17
	v_lshl_add_u64 v[14:15], s[28:29], 0, v[14:15]
	v_lshl_add_u64 v[14:15], v[10:11], 0, v[14:15]
	global_load_dword v16, v[14:15], off
	v_lshl_add_u64 v[14:15], v[8:9], 0, s[28:29]
	s_add_u32 s28, s28, s24
	s_addc_u32 s29, s29, s25
	s_or_b64 s[26:27], vcc, s[26:27]
	s_waitcnt vmcnt(0)
	v_cvt_i32_f32_e32 v16, v16
	global_store_dword v[14:15], v16, off
	s_andn2_b64 exec, exec, s[26:27]
	s_cbranch_execnz .LBB11_5
	s_branch .LBB11_2
.LBB11_6:
	s_endpgm
	.section	.rodata,"a",@progbits
	.p2align	6, 0x0
	.amdhsa_kernel _ZL16k_get_rows_floatIfiEvPKT_PKiPT0_ll15HIP_vector_typeIjLj3EEmmmmmmmmm
		.amdhsa_group_segment_fixed_size 0
		.amdhsa_private_segment_fixed_size 0
		.amdhsa_kernarg_size 384
		.amdhsa_user_sgpr_count 2
		.amdhsa_user_sgpr_dispatch_ptr 0
		.amdhsa_user_sgpr_queue_ptr 0
		.amdhsa_user_sgpr_kernarg_segment_ptr 1
		.amdhsa_user_sgpr_dispatch_id 0
		.amdhsa_user_sgpr_kernarg_preload_length 0
		.amdhsa_user_sgpr_kernarg_preload_offset 0
		.amdhsa_user_sgpr_private_segment_size 0
		.amdhsa_uses_dynamic_stack 0
		.amdhsa_enable_private_segment 0
		.amdhsa_system_sgpr_workgroup_id_x 1
		.amdhsa_system_sgpr_workgroup_id_y 1
		.amdhsa_system_sgpr_workgroup_id_z 1
		.amdhsa_system_sgpr_workgroup_info 0
		.amdhsa_system_vgpr_workitem_id 0
		.amdhsa_next_free_vgpr 18
		.amdhsa_next_free_sgpr 44
		.amdhsa_accum_offset 20
		.amdhsa_reserve_vcc 1
		.amdhsa_float_round_mode_32 0
		.amdhsa_float_round_mode_16_64 0
		.amdhsa_float_denorm_mode_32 3
		.amdhsa_float_denorm_mode_16_64 3
		.amdhsa_dx10_clamp 1
		.amdhsa_ieee_mode 1
		.amdhsa_fp16_overflow 0
		.amdhsa_tg_split 0
		.amdhsa_exception_fp_ieee_invalid_op 0
		.amdhsa_exception_fp_denorm_src 0
		.amdhsa_exception_fp_ieee_div_zero 0
		.amdhsa_exception_fp_ieee_overflow 0
		.amdhsa_exception_fp_ieee_underflow 0
		.amdhsa_exception_fp_ieee_inexact 0
		.amdhsa_exception_int_div_zero 0
	.end_amdhsa_kernel
	.section	.text._ZL16k_get_rows_floatIfiEvPKT_PKiPT0_ll15HIP_vector_typeIjLj3EEmmmmmmmmm,"axG",@progbits,_ZL16k_get_rows_floatIfiEvPKT_PKiPT0_ll15HIP_vector_typeIjLj3EEmmmmmmmmm,comdat
.Lfunc_end11:
	.size	_ZL16k_get_rows_floatIfiEvPKT_PKiPT0_ll15HIP_vector_typeIjLj3EEmmmmmmmmm, .Lfunc_end11-_ZL16k_get_rows_floatIfiEvPKT_PKiPT0_ll15HIP_vector_typeIjLj3EEmmmmmmmmm
                                        ; -- End function
	.set _ZL16k_get_rows_floatIfiEvPKT_PKiPT0_ll15HIP_vector_typeIjLj3EEmmmmmmmmm.num_vgpr, 18
	.set _ZL16k_get_rows_floatIfiEvPKT_PKiPT0_ll15HIP_vector_typeIjLj3EEmmmmmmmmm.num_agpr, 0
	.set _ZL16k_get_rows_floatIfiEvPKT_PKiPT0_ll15HIP_vector_typeIjLj3EEmmmmmmmmm.numbered_sgpr, 44
	.set _ZL16k_get_rows_floatIfiEvPKT_PKiPT0_ll15HIP_vector_typeIjLj3EEmmmmmmmmm.num_named_barrier, 0
	.set _ZL16k_get_rows_floatIfiEvPKT_PKiPT0_ll15HIP_vector_typeIjLj3EEmmmmmmmmm.private_seg_size, 0
	.set _ZL16k_get_rows_floatIfiEvPKT_PKiPT0_ll15HIP_vector_typeIjLj3EEmmmmmmmmm.uses_vcc, 1
	.set _ZL16k_get_rows_floatIfiEvPKT_PKiPT0_ll15HIP_vector_typeIjLj3EEmmmmmmmmm.uses_flat_scratch, 0
	.set _ZL16k_get_rows_floatIfiEvPKT_PKiPT0_ll15HIP_vector_typeIjLj3EEmmmmmmmmm.has_dyn_sized_stack, 0
	.set _ZL16k_get_rows_floatIfiEvPKT_PKiPT0_ll15HIP_vector_typeIjLj3EEmmmmmmmmm.has_recursion, 0
	.set _ZL16k_get_rows_floatIfiEvPKT_PKiPT0_ll15HIP_vector_typeIjLj3EEmmmmmmmmm.has_indirect_call, 0
	.section	.AMDGPU.csdata,"",@progbits
; Kernel info:
; codeLenInByte = 688
; TotalNumSgprs: 50
; NumVgprs: 18
; NumAgprs: 0
; TotalNumVgprs: 18
; ScratchSize: 0
; MemoryBound: 0
; FloatMode: 240
; IeeeMode: 1
; LDSByteSize: 0 bytes/workgroup (compile time only)
; SGPRBlocks: 6
; VGPRBlocks: 2
; NumSGPRsForWavesPerEU: 50
; NumVGPRsForWavesPerEU: 18
; AccumOffset: 20
; Occupancy: 8
; WaveLimiterHint : 1
; COMPUTE_PGM_RSRC2:SCRATCH_EN: 0
; COMPUTE_PGM_RSRC2:USER_SGPR: 2
; COMPUTE_PGM_RSRC2:TRAP_HANDLER: 0
; COMPUTE_PGM_RSRC2:TGID_X_EN: 1
; COMPUTE_PGM_RSRC2:TGID_Y_EN: 1
; COMPUTE_PGM_RSRC2:TGID_Z_EN: 1
; COMPUTE_PGM_RSRC2:TIDIG_COMP_CNT: 0
; COMPUTE_PGM_RSRC3_GFX90A:ACCUM_OFFSET: 4
; COMPUTE_PGM_RSRC3_GFX90A:TG_SPLIT: 0
	.section	.text._ZL16k_get_rows_floatIiiEvPKT_PKiPT0_ll15HIP_vector_typeIjLj3EEmmmmmmmmm,"axG",@progbits,_ZL16k_get_rows_floatIiiEvPKT_PKiPT0_ll15HIP_vector_typeIjLj3EEmmmmmmmmm,comdat
	.globl	_ZL16k_get_rows_floatIiiEvPKT_PKiPT0_ll15HIP_vector_typeIjLj3EEmmmmmmmmm ; -- Begin function _ZL16k_get_rows_floatIiiEvPKT_PKiPT0_ll15HIP_vector_typeIjLj3EEmmmmmmmmm
	.p2align	8
	.type	_ZL16k_get_rows_floatIiiEvPKT_PKiPT0_ll15HIP_vector_typeIjLj3EEmmmmmmmmm,@function
_ZL16k_get_rows_floatIiiEvPKT_PKiPT0_ll15HIP_vector_typeIjLj3EEmmmmmmmmm: ; @_ZL16k_get_rows_floatIiiEvPKT_PKiPT0_ll15HIP_vector_typeIjLj3EEmmmmmmmmm
; %bb.0:
	s_load_dwordx2 s[8:9], s[0:1], 0x20
	s_load_dwordx2 s[6:7], s[0:1], 0x2c
	s_mov_b32 s5, 0
	v_mov_b64_e32 v[2:3], s[4:5]
	s_waitcnt lgkmcnt(0)
	s_mul_i32 s9, s9, s7
	s_mul_hi_u32 s10, s8, s7
	s_add_i32 s41, s10, s9
	s_mul_i32 s40, s8, s7
	v_cmp_le_i64_e32 vcc, s[40:41], v[2:3]
	s_cbranch_vccnz .LBB12_6
; %bb.1:
	s_load_dwordx8 s[24:31], s[0:1], 0x0
	s_load_dwordx2 s[34:35], s[0:1], 0x78
	s_load_dwordx2 s[36:37], s[0:1], 0x88
	s_load_dword s33, s[0:1], 0x28
	s_load_dwordx16 s[8:23], s[0:1], 0x38
	s_add_u32 s38, s0, 0x80
	s_addc_u32 s39, s1, 0
	s_waitcnt lgkmcnt(0)
	s_and_b32 s37, s37, 0xffff
	s_mul_i32 s3, s3, s37
	v_add_u32_e32 v0, s3, v0
	s_ashr_i32 s3, s2, 31
	s_mul_hi_u32 s42, s20, s2
	s_mul_i32 s43, s20, s3
	s_add_i32 s42, s42, s43
	s_mul_i32 s21, s21, s2
	s_add_i32 s21, s42, s21
	s_mul_i32 s20, s20, s2
	s_lshl_b64 s[20:21], s[20:21], 2
	s_add_u32 s42, s26, s20
	s_mul_hi_u32 s20, s8, s2
	s_mul_i32 s3, s8, s3
	s_addc_u32 s43, s27, s21
	s_add_i32 s3, s20, s3
	s_mul_i32 s9, s9, s2
	s_add_i32 s3, s3, s9
	s_mul_i32 s2, s8, s2
	s_lshl_b64 s[2:3], s[2:3], 2
	v_mov_b32_e32 v1, 0
	s_add_u32 s2, s28, s2
	v_lshlrev_b64 v[4:5], 2, v[0:1]
	s_addc_u32 s3, s29, s3
	v_cmp_gt_i64_e64 s[0:1], s[30:31], v[0:1]
	v_lshl_add_u64 v[2:3], s[2:3], 0, v[4:5]
	s_lshl_b64 s[2:3], s[10:11], 2
	s_lshl_b64 s[8:9], s[12:13], 2
	v_lshl_add_u64 v[4:5], s[24:25], 0, v[4:5]
	v_mov_b64_e32 v[6:7], s[40:41]
	s_mov_b64 s[10:11], s[4:5]
	s_branch .LBB12_3
.LBB12_2:                               ;   in Loop: Header=BB12_3 Depth=1
	s_or_b64 exec, exec, s[12:13]
	s_add_u32 s10, s10, s36
	s_addc_u32 s11, s11, 0
	v_cmp_lt_i64_e32 vcc, s[10:11], v[6:7]
	s_cbranch_vccz .LBB12_6
.LBB12_3:                               ; =>This Loop Header: Depth=1
                                        ;     Child Loop BB12_5 Depth 2
	s_and_saveexec_b64 s[12:13], s[0:1]
	s_cbranch_execz .LBB12_2
; %bb.4:                                ;   in Loop: Header=BB12_3 Depth=1
	s_mul_hi_u32 s4, s10, s33
	s_add_i32 s4, s4, s10
	s_lshr_b32 s26, s4, s6
	s_mul_i32 s4, s26, s7
	s_ashr_i32 s28, s26, 31
	s_sub_i32 s27, s10, s4
	s_mul_i32 s4, s22, s28
	s_mul_hi_u32 s20, s22, s26
	s_add_i32 s4, s20, s4
	s_mul_i32 s20, s23, s26
	s_ashr_i32 s29, s27, 31
	s_add_i32 s21, s4, s20
	s_mul_i32 s4, s34, s29
	s_mul_hi_u32 s24, s34, s27
	s_mul_i32 s20, s22, s26
	s_add_i32 s4, s24, s4
	s_mul_i32 s24, s35, s27
	s_add_i32 s25, s4, s24
	s_lshl_b64 s[20:21], s[20:21], 2
	s_mul_i32 s24, s34, s27
	s_add_u32 s4, s42, s20
	s_addc_u32 s40, s43, s21
	s_lshl_b64 s[20:21], s[24:25], 2
	s_load_dword s25, s[38:39], 0x4
	s_add_u32 s20, s4, s20
	s_mul_i32 s4, s16, s28
	s_mul_hi_u32 s24, s16, s26
	s_addc_u32 s21, s40, s21
	s_add_i32 s4, s24, s4
	s_mul_i32 s24, s17, s26
	s_add_i32 s40, s4, s24
	s_waitcnt lgkmcnt(0)
	s_mul_i32 s4, s25, s37
	s_mul_i32 s24, s2, s28
	s_mul_hi_u32 s25, s2, s26
	s_add_i32 s24, s25, s24
	s_mul_i32 s25, s3, s26
	s_mul_i32 s41, s16, s26
	s_add_i32 s25, s24, s25
	s_mul_i32 s24, s2, s26
	s_mul_i32 s26, s8, s29
	s_mul_hi_u32 s28, s8, s27
	s_add_i32 s26, s28, s26
	s_mul_i32 s28, s9, s27
	s_add_i32 s26, s26, s28
	s_mul_i32 s28, s8, s27
	s_add_u32 s24, s24, s28
	s_addc_u32 s25, s25, s26
	s_mul_i32 s26, s18, s29
	s_mul_hi_u32 s28, s18, s27
	s_add_i32 s26, s28, s26
	s_mul_i32 s28, s19, s27
	v_lshl_add_u64 v[8:9], v[2:3], 0, s[24:25]
	s_lshl_b64 s[24:25], s[4:5], 2
	s_add_i32 s28, s26, s28
	s_mul_i32 s26, s18, s27
	s_add_u32 s26, s41, s26
	s_addc_u32 s27, s40, s28
	v_lshl_add_u64 v[10:11], v[4:5], 0, s[26:27]
	s_mov_b64 s[26:27], 0
	s_mov_b64 s[28:29], 0
	v_mov_b64_e32 v[12:13], v[0:1]
.LBB12_5:                               ;   Parent Loop BB12_3 Depth=1
                                        ; =>  This Inner Loop Header: Depth=2
	global_load_dword v14, v1, s[20:21]
	v_lshl_add_u64 v[12:13], v[12:13], 0, s[4:5]
	v_cmp_le_i64_e32 vcc, s[30:31], v[12:13]
	s_waitcnt vmcnt(0)
	v_ashrrev_i32_e32 v15, 31, v14
	v_mul_hi_u32 v16, s14, v14
	v_mul_lo_u32 v15, s14, v15
	v_mul_lo_u32 v17, s15, v14
	v_add_u32_e32 v15, v16, v15
	v_mul_lo_u32 v14, s14, v14
	v_add_u32_e32 v15, v15, v17
	v_lshl_add_u64 v[14:15], s[28:29], 0, v[14:15]
	v_lshl_add_u64 v[14:15], v[10:11], 0, v[14:15]
	global_load_dword v16, v[14:15], off
	v_lshl_add_u64 v[14:15], v[8:9], 0, s[28:29]
	s_add_u32 s28, s28, s24
	s_addc_u32 s29, s29, s25
	s_or_b64 s[26:27], vcc, s[26:27]
	s_waitcnt vmcnt(0)
	global_store_dword v[14:15], v16, off
	s_andn2_b64 exec, exec, s[26:27]
	s_cbranch_execnz .LBB12_5
	s_branch .LBB12_2
.LBB12_6:
	s_endpgm
	.section	.rodata,"a",@progbits
	.p2align	6, 0x0
	.amdhsa_kernel _ZL16k_get_rows_floatIiiEvPKT_PKiPT0_ll15HIP_vector_typeIjLj3EEmmmmmmmmm
		.amdhsa_group_segment_fixed_size 0
		.amdhsa_private_segment_fixed_size 0
		.amdhsa_kernarg_size 384
		.amdhsa_user_sgpr_count 2
		.amdhsa_user_sgpr_dispatch_ptr 0
		.amdhsa_user_sgpr_queue_ptr 0
		.amdhsa_user_sgpr_kernarg_segment_ptr 1
		.amdhsa_user_sgpr_dispatch_id 0
		.amdhsa_user_sgpr_kernarg_preload_length 0
		.amdhsa_user_sgpr_kernarg_preload_offset 0
		.amdhsa_user_sgpr_private_segment_size 0
		.amdhsa_uses_dynamic_stack 0
		.amdhsa_enable_private_segment 0
		.amdhsa_system_sgpr_workgroup_id_x 1
		.amdhsa_system_sgpr_workgroup_id_y 1
		.amdhsa_system_sgpr_workgroup_id_z 1
		.amdhsa_system_sgpr_workgroup_info 0
		.amdhsa_system_vgpr_workitem_id 0
		.amdhsa_next_free_vgpr 18
		.amdhsa_next_free_sgpr 44
		.amdhsa_accum_offset 20
		.amdhsa_reserve_vcc 1
		.amdhsa_float_round_mode_32 0
		.amdhsa_float_round_mode_16_64 0
		.amdhsa_float_denorm_mode_32 3
		.amdhsa_float_denorm_mode_16_64 3
		.amdhsa_dx10_clamp 1
		.amdhsa_ieee_mode 1
		.amdhsa_fp16_overflow 0
		.amdhsa_tg_split 0
		.amdhsa_exception_fp_ieee_invalid_op 0
		.amdhsa_exception_fp_denorm_src 0
		.amdhsa_exception_fp_ieee_div_zero 0
		.amdhsa_exception_fp_ieee_overflow 0
		.amdhsa_exception_fp_ieee_underflow 0
		.amdhsa_exception_fp_ieee_inexact 0
		.amdhsa_exception_int_div_zero 0
	.end_amdhsa_kernel
	.section	.text._ZL16k_get_rows_floatIiiEvPKT_PKiPT0_ll15HIP_vector_typeIjLj3EEmmmmmmmmm,"axG",@progbits,_ZL16k_get_rows_floatIiiEvPKT_PKiPT0_ll15HIP_vector_typeIjLj3EEmmmmmmmmm,comdat
.Lfunc_end12:
	.size	_ZL16k_get_rows_floatIiiEvPKT_PKiPT0_ll15HIP_vector_typeIjLj3EEmmmmmmmmm, .Lfunc_end12-_ZL16k_get_rows_floatIiiEvPKT_PKiPT0_ll15HIP_vector_typeIjLj3EEmmmmmmmmm
                                        ; -- End function
	.set _ZL16k_get_rows_floatIiiEvPKT_PKiPT0_ll15HIP_vector_typeIjLj3EEmmmmmmmmm.num_vgpr, 18
	.set _ZL16k_get_rows_floatIiiEvPKT_PKiPT0_ll15HIP_vector_typeIjLj3EEmmmmmmmmm.num_agpr, 0
	.set _ZL16k_get_rows_floatIiiEvPKT_PKiPT0_ll15HIP_vector_typeIjLj3EEmmmmmmmmm.numbered_sgpr, 44
	.set _ZL16k_get_rows_floatIiiEvPKT_PKiPT0_ll15HIP_vector_typeIjLj3EEmmmmmmmmm.num_named_barrier, 0
	.set _ZL16k_get_rows_floatIiiEvPKT_PKiPT0_ll15HIP_vector_typeIjLj3EEmmmmmmmmm.private_seg_size, 0
	.set _ZL16k_get_rows_floatIiiEvPKT_PKiPT0_ll15HIP_vector_typeIjLj3EEmmmmmmmmm.uses_vcc, 1
	.set _ZL16k_get_rows_floatIiiEvPKT_PKiPT0_ll15HIP_vector_typeIjLj3EEmmmmmmmmm.uses_flat_scratch, 0
	.set _ZL16k_get_rows_floatIiiEvPKT_PKiPT0_ll15HIP_vector_typeIjLj3EEmmmmmmmmm.has_dyn_sized_stack, 0
	.set _ZL16k_get_rows_floatIiiEvPKT_PKiPT0_ll15HIP_vector_typeIjLj3EEmmmmmmmmm.has_recursion, 0
	.set _ZL16k_get_rows_floatIiiEvPKT_PKiPT0_ll15HIP_vector_typeIjLj3EEmmmmmmmmm.has_indirect_call, 0
	.section	.AMDGPU.csdata,"",@progbits
; Kernel info:
; codeLenInByte = 684
; TotalNumSgprs: 50
; NumVgprs: 18
; NumAgprs: 0
; TotalNumVgprs: 18
; ScratchSize: 0
; MemoryBound: 0
; FloatMode: 240
; IeeeMode: 1
; LDSByteSize: 0 bytes/workgroup (compile time only)
; SGPRBlocks: 6
; VGPRBlocks: 2
; NumSGPRsForWavesPerEU: 50
; NumVGPRsForWavesPerEU: 18
; AccumOffset: 20
; Occupancy: 8
; WaveLimiterHint : 1
; COMPUTE_PGM_RSRC2:SCRATCH_EN: 0
; COMPUTE_PGM_RSRC2:USER_SGPR: 2
; COMPUTE_PGM_RSRC2:TRAP_HANDLER: 0
; COMPUTE_PGM_RSRC2:TGID_X_EN: 1
; COMPUTE_PGM_RSRC2:TGID_Y_EN: 1
; COMPUTE_PGM_RSRC2:TGID_Z_EN: 1
; COMPUTE_PGM_RSRC2:TIDIG_COMP_CNT: 0
; COMPUTE_PGM_RSRC3_GFX90A:ACCUM_OFFSET: 4
; COMPUTE_PGM_RSRC3_GFX90A:TG_SPLIT: 0
	.section	.text._ZL16k_get_rows_floatI14__hip_bfloat16iEvPKT_PKiPT0_ll15HIP_vector_typeIjLj3EEmmmmmmmmm,"axG",@progbits,_ZL16k_get_rows_floatI14__hip_bfloat16iEvPKT_PKiPT0_ll15HIP_vector_typeIjLj3EEmmmmmmmmm,comdat
	.globl	_ZL16k_get_rows_floatI14__hip_bfloat16iEvPKT_PKiPT0_ll15HIP_vector_typeIjLj3EEmmmmmmmmm ; -- Begin function _ZL16k_get_rows_floatI14__hip_bfloat16iEvPKT_PKiPT0_ll15HIP_vector_typeIjLj3EEmmmmmmmmm
	.p2align	8
	.type	_ZL16k_get_rows_floatI14__hip_bfloat16iEvPKT_PKiPT0_ll15HIP_vector_typeIjLj3EEmmmmmmmmm,@function
_ZL16k_get_rows_floatI14__hip_bfloat16iEvPKT_PKiPT0_ll15HIP_vector_typeIjLj3EEmmmmmmmmm: ; @_ZL16k_get_rows_floatI14__hip_bfloat16iEvPKT_PKiPT0_ll15HIP_vector_typeIjLj3EEmmmmmmmmm
; %bb.0:
	s_load_dwordx2 s[8:9], s[0:1], 0x20
	s_load_dwordx2 s[6:7], s[0:1], 0x2c
	s_mov_b32 s5, 0
	v_mov_b64_e32 v[2:3], s[4:5]
	s_waitcnt lgkmcnt(0)
	s_mul_i32 s9, s9, s7
	s_mul_hi_u32 s10, s8, s7
	s_add_i32 s39, s10, s9
	s_mul_i32 s38, s8, s7
	v_cmp_le_i64_e32 vcc, s[38:39], v[2:3]
	s_cbranch_vccnz .LBB13_6
; %bb.1:
	s_load_dwordx8 s[24:31], s[0:1], 0x0
	s_load_dword s33, s[0:1], 0x28
	s_load_dwordx2 s[34:35], s[0:1], 0x78
	s_load_dwordx2 s[36:37], s[0:1], 0x88
	s_load_dwordx16 s[8:23], s[0:1], 0x38
	s_waitcnt lgkmcnt(0)
	v_mov_b32_e32 v4, s24
	s_add_u32 s24, s0, 0x80
	v_mov_b32_e32 v5, s25
	s_addc_u32 s25, s1, 0
	s_and_b32 s37, s37, 0xffff
	s_mul_i32 s3, s3, s37
	v_add_u32_e32 v0, s3, v0
	s_ashr_i32 s3, s2, 31
	s_mul_hi_u32 s40, s20, s2
	s_mul_i32 s41, s20, s3
	s_add_i32 s40, s40, s41
	s_mul_i32 s21, s21, s2
	s_add_i32 s21, s40, s21
	s_mul_i32 s20, s20, s2
	s_lshl_b64 s[20:21], s[20:21], 2
	s_add_u32 s40, s26, s20
	s_mul_hi_u32 s20, s8, s2
	s_mul_i32 s3, s8, s3
	s_addc_u32 s41, s27, s21
	s_add_i32 s3, s20, s3
	s_mul_i32 s9, s9, s2
	s_add_i32 s3, s3, s9
	s_mul_i32 s2, s8, s2
	s_lshl_b64 s[2:3], s[2:3], 2
	s_add_u32 s2, s28, s2
	v_mov_b32_e32 v1, 0
	s_addc_u32 s3, s29, s3
	v_cmp_gt_i64_e64 s[0:1], s[30:31], v[0:1]
	v_lshl_add_u64 v[2:3], v[0:1], 2, s[2:3]
	s_lshl_b64 s[2:3], s[10:11], 2
	s_lshl_b64 s[8:9], s[12:13], 2
	v_lshl_add_u64 v[4:5], v[0:1], 1, v[4:5]
	v_mov_b64_e32 v[6:7], s[38:39]
	s_mov_b64 s[10:11], s[4:5]
	s_branch .LBB13_3
.LBB13_2:                               ;   in Loop: Header=BB13_3 Depth=1
	s_or_b64 exec, exec, s[12:13]
	s_add_u32 s10, s10, s36
	s_addc_u32 s11, s11, 0
	v_cmp_lt_i64_e32 vcc, s[10:11], v[6:7]
	s_cbranch_vccz .LBB13_6
.LBB13_3:                               ; =>This Loop Header: Depth=1
                                        ;     Child Loop BB13_5 Depth 2
	s_and_saveexec_b64 s[12:13], s[0:1]
	s_cbranch_execz .LBB13_2
; %bb.4:                                ;   in Loop: Header=BB13_3 Depth=1
	s_mul_hi_u32 s4, s10, s33
	s_add_i32 s4, s4, s10
	s_lshr_b32 s28, s4, s6
	s_mul_i32 s4, s28, s7
	s_ashr_i32 s38, s28, 31
	s_sub_i32 s29, s10, s4
	s_mul_i32 s4, s22, s38
	s_mul_hi_u32 s20, s22, s28
	s_add_i32 s4, s20, s4
	s_mul_i32 s20, s23, s28
	s_ashr_i32 s39, s29, 31
	s_add_i32 s21, s4, s20
	s_mul_i32 s4, s34, s39
	s_mul_hi_u32 s26, s34, s29
	s_mul_i32 s20, s22, s28
	s_add_i32 s4, s26, s4
	s_mul_i32 s26, s35, s29
	s_add_i32 s27, s4, s26
	s_lshl_b64 s[20:21], s[20:21], 2
	s_mul_i32 s26, s34, s29
	s_add_u32 s4, s40, s20
	s_addc_u32 s42, s41, s21
	s_lshl_b64 s[20:21], s[26:27], 2
	s_load_dword s27, s[24:25], 0x4
	s_add_u32 s20, s4, s20
	s_mul_i32 s4, s16, s38
	s_mul_hi_u32 s26, s16, s28
	s_addc_u32 s21, s42, s21
	s_add_i32 s4, s26, s4
	s_mul_i32 s26, s17, s28
	s_add_i32 s42, s4, s26
	s_waitcnt lgkmcnt(0)
	s_mul_i32 s4, s27, s37
	s_mul_i32 s26, s2, s38
	s_mul_hi_u32 s27, s2, s28
	s_add_i32 s26, s27, s26
	s_mul_i32 s27, s3, s28
	s_mul_i32 s43, s16, s28
	s_add_i32 s27, s26, s27
	s_mul_i32 s26, s2, s28
	s_mul_i32 s28, s8, s39
	s_mul_hi_u32 s38, s8, s29
	s_add_i32 s28, s38, s28
	s_mul_i32 s38, s9, s29
	s_add_i32 s28, s28, s38
	s_mul_i32 s38, s8, s29
	s_add_u32 s26, s26, s38
	s_addc_u32 s27, s27, s28
	s_mul_i32 s28, s18, s39
	s_mul_hi_u32 s38, s18, s29
	s_add_i32 s28, s38, s28
	s_mul_i32 s38, s19, s29
	v_lshl_add_u64 v[8:9], v[2:3], 0, s[26:27]
	s_lshl_b64 s[26:27], s[4:5], 2
	s_add_i32 s38, s28, s38
	s_mul_i32 s28, s18, s29
	s_add_u32 s28, s43, s28
	s_addc_u32 s29, s42, s38
	v_lshl_add_u64 v[10:11], v[4:5], 0, s[28:29]
	s_lshl_b64 s[28:29], s[4:5], 1
	s_mov_b64 s[38:39], 0
	v_mov_b64_e32 v[12:13], v[0:1]
.LBB13_5:                               ;   Parent Loop BB13_3 Depth=1
                                        ; =>  This Inner Loop Header: Depth=2
	global_load_dword v14, v1, s[20:21]
	v_lshl_add_u64 v[12:13], v[12:13], 0, s[4:5]
	v_cmp_le_i64_e32 vcc, s[30:31], v[12:13]
	s_or_b64 s[38:39], vcc, s[38:39]
	s_waitcnt vmcnt(0)
	v_ashrrev_i32_e32 v16, 31, v14
	v_mul_lo_u32 v17, s15, v14
	v_mul_lo_u32 v16, s14, v16
	v_mad_u64_u32 v[14:15], s[42:43], s14, v14, v[10:11]
	v_add_u32_e32 v16, v16, v17
	v_add_u32_e32 v15, v16, v15
	global_load_ushort v14, v[14:15], off
	v_lshl_add_u64 v[10:11], v[10:11], 0, s[28:29]
	s_waitcnt vmcnt(0)
	v_lshlrev_b32_e32 v14, 16, v14
	v_cvt_i32_f32_e32 v14, v14
	global_store_dword v[8:9], v14, off
	v_lshl_add_u64 v[8:9], v[8:9], 0, s[26:27]
	s_andn2_b64 exec, exec, s[38:39]
	s_cbranch_execnz .LBB13_5
	s_branch .LBB13_2
.LBB13_6:
	s_endpgm
	.section	.rodata,"a",@progbits
	.p2align	6, 0x0
	.amdhsa_kernel _ZL16k_get_rows_floatI14__hip_bfloat16iEvPKT_PKiPT0_ll15HIP_vector_typeIjLj3EEmmmmmmmmm
		.amdhsa_group_segment_fixed_size 0
		.amdhsa_private_segment_fixed_size 0
		.amdhsa_kernarg_size 384
		.amdhsa_user_sgpr_count 2
		.amdhsa_user_sgpr_dispatch_ptr 0
		.amdhsa_user_sgpr_queue_ptr 0
		.amdhsa_user_sgpr_kernarg_segment_ptr 1
		.amdhsa_user_sgpr_dispatch_id 0
		.amdhsa_user_sgpr_kernarg_preload_length 0
		.amdhsa_user_sgpr_kernarg_preload_offset 0
		.amdhsa_user_sgpr_private_segment_size 0
		.amdhsa_uses_dynamic_stack 0
		.amdhsa_enable_private_segment 0
		.amdhsa_system_sgpr_workgroup_id_x 1
		.amdhsa_system_sgpr_workgroup_id_y 1
		.amdhsa_system_sgpr_workgroup_id_z 1
		.amdhsa_system_sgpr_workgroup_info 0
		.amdhsa_system_vgpr_workitem_id 0
		.amdhsa_next_free_vgpr 18
		.amdhsa_next_free_sgpr 44
		.amdhsa_accum_offset 20
		.amdhsa_reserve_vcc 1
		.amdhsa_float_round_mode_32 0
		.amdhsa_float_round_mode_16_64 0
		.amdhsa_float_denorm_mode_32 3
		.amdhsa_float_denorm_mode_16_64 3
		.amdhsa_dx10_clamp 1
		.amdhsa_ieee_mode 1
		.amdhsa_fp16_overflow 0
		.amdhsa_tg_split 0
		.amdhsa_exception_fp_ieee_invalid_op 0
		.amdhsa_exception_fp_denorm_src 0
		.amdhsa_exception_fp_ieee_div_zero 0
		.amdhsa_exception_fp_ieee_overflow 0
		.amdhsa_exception_fp_ieee_underflow 0
		.amdhsa_exception_fp_ieee_inexact 0
		.amdhsa_exception_int_div_zero 0
	.end_amdhsa_kernel
	.section	.text._ZL16k_get_rows_floatI14__hip_bfloat16iEvPKT_PKiPT0_ll15HIP_vector_typeIjLj3EEmmmmmmmmm,"axG",@progbits,_ZL16k_get_rows_floatI14__hip_bfloat16iEvPKT_PKiPT0_ll15HIP_vector_typeIjLj3EEmmmmmmmmm,comdat
.Lfunc_end13:
	.size	_ZL16k_get_rows_floatI14__hip_bfloat16iEvPKT_PKiPT0_ll15HIP_vector_typeIjLj3EEmmmmmmmmm, .Lfunc_end13-_ZL16k_get_rows_floatI14__hip_bfloat16iEvPKT_PKiPT0_ll15HIP_vector_typeIjLj3EEmmmmmmmmm
                                        ; -- End function
	.set _ZL16k_get_rows_floatI14__hip_bfloat16iEvPKT_PKiPT0_ll15HIP_vector_typeIjLj3EEmmmmmmmmm.num_vgpr, 18
	.set _ZL16k_get_rows_floatI14__hip_bfloat16iEvPKT_PKiPT0_ll15HIP_vector_typeIjLj3EEmmmmmmmmm.num_agpr, 0
	.set _ZL16k_get_rows_floatI14__hip_bfloat16iEvPKT_PKiPT0_ll15HIP_vector_typeIjLj3EEmmmmmmmmm.numbered_sgpr, 44
	.set _ZL16k_get_rows_floatI14__hip_bfloat16iEvPKT_PKiPT0_ll15HIP_vector_typeIjLj3EEmmmmmmmmm.num_named_barrier, 0
	.set _ZL16k_get_rows_floatI14__hip_bfloat16iEvPKT_PKiPT0_ll15HIP_vector_typeIjLj3EEmmmmmmmmm.private_seg_size, 0
	.set _ZL16k_get_rows_floatI14__hip_bfloat16iEvPKT_PKiPT0_ll15HIP_vector_typeIjLj3EEmmmmmmmmm.uses_vcc, 1
	.set _ZL16k_get_rows_floatI14__hip_bfloat16iEvPKT_PKiPT0_ll15HIP_vector_typeIjLj3EEmmmmmmmmm.uses_flat_scratch, 0
	.set _ZL16k_get_rows_floatI14__hip_bfloat16iEvPKT_PKiPT0_ll15HIP_vector_typeIjLj3EEmmmmmmmmm.has_dyn_sized_stack, 0
	.set _ZL16k_get_rows_floatI14__hip_bfloat16iEvPKT_PKiPT0_ll15HIP_vector_typeIjLj3EEmmmmmmmmm.has_recursion, 0
	.set _ZL16k_get_rows_floatI14__hip_bfloat16iEvPKT_PKiPT0_ll15HIP_vector_typeIjLj3EEmmmmmmmmm.has_indirect_call, 0
	.section	.AMDGPU.csdata,"",@progbits
; Kernel info:
; codeLenInByte = 668
; TotalNumSgprs: 50
; NumVgprs: 18
; NumAgprs: 0
; TotalNumVgprs: 18
; ScratchSize: 0
; MemoryBound: 0
; FloatMode: 240
; IeeeMode: 1
; LDSByteSize: 0 bytes/workgroup (compile time only)
; SGPRBlocks: 6
; VGPRBlocks: 2
; NumSGPRsForWavesPerEU: 50
; NumVGPRsForWavesPerEU: 18
; AccumOffset: 20
; Occupancy: 8
; WaveLimiterHint : 1
; COMPUTE_PGM_RSRC2:SCRATCH_EN: 0
; COMPUTE_PGM_RSRC2:USER_SGPR: 2
; COMPUTE_PGM_RSRC2:TRAP_HANDLER: 0
; COMPUTE_PGM_RSRC2:TGID_X_EN: 1
; COMPUTE_PGM_RSRC2:TGID_Y_EN: 1
; COMPUTE_PGM_RSRC2:TGID_Z_EN: 1
; COMPUTE_PGM_RSRC2:TIDIG_COMP_CNT: 0
; COMPUTE_PGM_RSRC3_GFX90A:ACCUM_OFFSET: 4
; COMPUTE_PGM_RSRC3_GFX90A:TG_SPLIT: 0
	.section	.text._ZL10k_get_rowsILi128ELi1EXadL_ZL15dequantize_q1_0PKvliR15HIP_vector_typeIfLj2EEEEiEvS1_PKiPT2_llS2_IjLj3EEmmmmmmmmm,"axG",@progbits,_ZL10k_get_rowsILi128ELi1EXadL_ZL15dequantize_q1_0PKvliR15HIP_vector_typeIfLj2EEEEiEvS1_PKiPT2_llS2_IjLj3EEmmmmmmmmm,comdat
	.globl	_ZL10k_get_rowsILi128ELi1EXadL_ZL15dequantize_q1_0PKvliR15HIP_vector_typeIfLj2EEEEiEvS1_PKiPT2_llS2_IjLj3EEmmmmmmmmm ; -- Begin function _ZL10k_get_rowsILi128ELi1EXadL_ZL15dequantize_q1_0PKvliR15HIP_vector_typeIfLj2EEEEiEvS1_PKiPT2_llS2_IjLj3EEmmmmmmmmm
	.p2align	8
	.type	_ZL10k_get_rowsILi128ELi1EXadL_ZL15dequantize_q1_0PKvliR15HIP_vector_typeIfLj2EEEEiEvS1_PKiPT2_llS2_IjLj3EEmmmmmmmmm,@function
_ZL10k_get_rowsILi128ELi1EXadL_ZL15dequantize_q1_0PKvliR15HIP_vector_typeIfLj2EEEEiEvS1_PKiPT2_llS2_IjLj3EEmmmmmmmmm: ; @_ZL10k_get_rowsILi128ELi1EXadL_ZL15dequantize_q1_0PKvliR15HIP_vector_typeIfLj2EEEEiEvS1_PKiPT2_llS2_IjLj3EEmmmmmmmmm
; %bb.0:
	s_load_dwordx4 s[24:27], s[0:1], 0x18
	s_load_dwordx2 s[6:7], s[0:1], 0x2c
	s_mov_b32 s5, 0
	v_mov_b64_e32 v[2:3], s[4:5]
	s_waitcnt lgkmcnt(0)
	s_mul_i32 s8, s27, s7
	s_mul_hi_u32 s9, s26, s7
	s_add_i32 s39, s9, s8
	s_mul_i32 s38, s26, s7
	v_cmp_le_i64_e32 vcc, s[38:39], v[2:3]
	s_cbranch_vccnz .LBB14_6
; %bb.1:
	s_load_dwordx4 s[28:31], s[0:1], 0x0
	s_load_dwordx2 s[40:41], s[0:1], 0x10
	s_load_dwordx2 s[26:27], s[0:1], 0x78
	;; [unrolled: 1-line block ×3, first 2 shown]
	s_load_dword s33, s[0:1], 0x28
	s_load_dwordx16 s[8:23], s[0:1], 0x38
	s_add_u32 s36, s0, 0x80
	s_addc_u32 s37, s1, 0
	s_waitcnt lgkmcnt(0)
	s_and_b32 s35, s35, 0xffff
	s_mul_i32 s3, s3, s35
	v_add_lshl_u32 v0, s3, v0, 1
	s_ashr_i32 s3, s2, 31
	s_mul_hi_u32 s42, s20, s2
	s_mul_i32 s43, s20, s3
	s_add_i32 s42, s42, s43
	s_mul_i32 s21, s21, s2
	s_add_i32 s21, s42, s21
	s_mul_i32 s20, s20, s2
	s_lshl_b64 s[20:21], s[20:21], 2
	s_add_u32 s44, s30, s20
	s_mul_hi_u32 s20, s8, s2
	s_mul_i32 s3, s8, s3
	s_addc_u32 s45, s31, s21
	s_add_i32 s3, s20, s3
	s_mul_i32 s9, s9, s2
	s_add_i32 s3, s3, s9
	s_mul_i32 s2, s8, s2
	s_lshl_b64 s[2:3], s[2:3], 2
	v_mov_b32_e32 v1, 0
	s_add_u32 s46, s40, s2
	v_mov_b64_e32 v[2:3], v[0:1]
	v_cmp_gt_i64_e64 s[0:1], s[24:25], v[0:1]
	s_addc_u32 s47, s41, s3
	v_lshlrev_b64 v[4:5], 25, v[0:1]
	v_mov_b32_e32 v6, v1
	v_mov_b32_e32 v7, v0
	v_mov_b64_e32 v[8:9], s[38:39]
	s_mov_b64 s[2:3], s[4:5]
	s_branch .LBB14_3
.LBB14_2:                               ;   in Loop: Header=BB14_3 Depth=1
	s_or_b64 exec, exec, s[8:9]
	s_add_u32 s2, s2, s34
	s_addc_u32 s3, s3, 0
	v_cmp_ge_i64_e32 vcc, s[2:3], v[8:9]
	s_cbranch_vccnz .LBB14_6
.LBB14_3:                               ; =>This Loop Header: Depth=1
                                        ;     Child Loop BB14_5 Depth 2
	s_and_saveexec_b64 s[8:9], s[0:1]
	s_cbranch_execz .LBB14_2
; %bb.4:                                ;   in Loop: Header=BB14_3 Depth=1
	s_mul_hi_u32 s4, s2, s33
	s_add_i32 s4, s4, s2
	s_lshr_b32 s4, s4, s6
	s_mul_i32 s20, s4, s7
	s_sub_i32 s38, s2, s20
	s_ashr_i32 s39, s4, 31
	s_mul_i32 s20, s22, s39
	s_mul_hi_u32 s21, s22, s4
	s_ashr_i32 s40, s38, 31
	s_add_i32 s20, s21, s20
	s_mul_i32 s21, s23, s4
	s_mul_i32 s30, s26, s40
	s_mul_hi_u32 s31, s26, s38
	s_add_i32 s21, s20, s21
	s_mul_i32 s20, s22, s4
	s_add_i32 s30, s31, s30
	s_mul_i32 s31, s27, s38
	s_add_i32 s31, s30, s31
	s_lshl_b64 s[20:21], s[20:21], 2
	s_mul_i32 s30, s26, s38
	s_add_u32 s41, s44, s20
	s_addc_u32 s42, s45, s21
	s_lshl_b64 s[20:21], s[30:31], 2
	s_add_u32 s20, s41, s20
	s_addc_u32 s21, s42, s21
	s_load_dword s30, s[20:21], 0x0
	s_mul_i32 s20, s10, s39
	s_mul_hi_u32 s21, s10, s4
	s_add_i32 s20, s21, s20
	s_mul_i32 s21, s11, s4
	s_add_i32 s21, s20, s21
	s_mul_i32 s20, s10, s4
	s_waitcnt lgkmcnt(0)
	s_ashr_i32 s31, s30, 31
	s_lshl_b64 s[20:21], s[20:21], 2
	s_add_u32 s41, s46, s20
	s_addc_u32 s42, s47, s21
	s_mul_i32 s20, s12, s40
	s_mul_hi_u32 s21, s12, s38
	s_add_i32 s20, s21, s20
	s_mul_i32 s21, s13, s38
	s_add_i32 s21, s20, s21
	s_mul_i32 s20, s12, s38
	s_lshl_b64 s[20:21], s[20:21], 2
	s_add_u32 s20, s41, s20
	s_mul_i32 s31, s14, s31
	s_mul_hi_u32 s41, s14, s30
	s_addc_u32 s21, s42, s21
	s_add_i32 s31, s41, s31
	s_mul_i32 s41, s15, s30
	s_add_i32 s31, s31, s41
	s_mul_i32 s30, s14, s30
	s_add_u32 s30, s28, s30
	s_mul_i32 s39, s16, s39
	s_mul_hi_u32 s41, s16, s4
	s_addc_u32 s31, s29, s31
	s_add_i32 s39, s41, s39
	s_mul_i32 s41, s17, s4
	s_add_i32 s39, s39, s41
	s_mul_i32 s4, s16, s4
	s_add_u32 s4, s30, s4
	s_mul_i32 s30, s18, s40
	s_load_dword s40, s[36:37], 0x4
	s_addc_u32 s31, s31, s39
	s_mul_hi_u32 s39, s18, s38
	s_add_i32 s30, s39, s30
	s_mul_i32 s39, s19, s38
	s_add_i32 s39, s30, s39
	s_mul_i32 s30, s18, s38
	s_add_u32 s30, s4, s30
	s_waitcnt lgkmcnt(0)
	s_mul_i32 s4, s40, s35
	s_addc_u32 s31, s31, s39
	s_lshl_b64 s[38:39], s[4:5], 25
	s_mov_b32 s40, s5
	s_mov_b32 s41, s4
	s_mov_b64 s[42:43], 0
	v_mov_b64_e32 v[10:11], v[6:7]
	v_mov_b64_e32 v[12:13], v[4:5]
	;; [unrolled: 1-line block ×3, first 2 shown]
.LBB14_5:                               ;   Parent Loop BB14_3 Depth=1
                                        ; =>  This Inner Loop Header: Depth=2
	v_and_b32_e32 v18, 0x7f, v14
	v_mad_i64_i32 v[16:17], s[48:49], v13, 18, s[30:31]
	v_bfe_u32 v0, v14, 3, 4
	v_add_u32_e32 v23, 1, v18
	v_mov_b32_e32 v19, v1
	v_lshl_add_u64 v[20:21], v[16:17], 0, v[0:1]
	v_lshrrev_b32_e32 v18, 3, v23
	global_load_ushort v22, v[16:17], off
	global_load_ubyte v0, v[20:21], off offset:2
	v_lshl_add_u64 v[16:17], v[16:17], 0, v[18:19]
	global_load_ubyte v18, v[16:17], off offset:2
	v_and_b32_e32 v19, 7, v14
	v_and_b32_e32 v20, 7, v23
	v_lshl_add_u64 v[14:15], v[14:15], 0, s[4:5]
	v_ashrrev_i64 v[16:17], 30, v[10:11]
	v_cmp_le_i64_e32 vcc, s[24:25], v[14:15]
	v_lshl_add_u64 v[12:13], v[12:13], 0, s[38:39]
	v_lshl_add_u64 v[10:11], v[10:11], 0, s[40:41]
	;; [unrolled: 1-line block ×3, first 2 shown]
	s_or_b64 s[42:43], vcc, s[42:43]
	s_waitcnt vmcnt(2)
	v_cvt_f32_f16_e32 v21, v22
	s_waitcnt vmcnt(1)
	v_lshrrev_b32_e32 v0, v19, v0
	v_lshlrev_b32_e32 v0, 1, v0
	s_waitcnt vmcnt(0)
	v_lshrrev_b32_e32 v18, v20, v18
	v_and_b32_e32 v0, 2, v0
	v_lshlrev_b32_e32 v18, 1, v18
	v_add_u32_e32 v0, -1, v0
	v_and_b32_e32 v18, 2, v18
	v_cvt_f32_i32_e32 v0, v0
	v_add_u32_e32 v18, -1, v18
	v_cvt_f32_i32_e32 v19, v18
	v_mul_f32_e32 v0, v21, v0
	v_cvt_i32_f32_e32 v18, v0
	v_mul_f32_e32 v0, v21, v19
	v_cvt_i32_f32_e32 v19, v0
	global_store_dwordx2 v[16:17], v[18:19], off
	s_andn2_b64 exec, exec, s[42:43]
	s_cbranch_execnz .LBB14_5
	s_branch .LBB14_2
.LBB14_6:
	s_endpgm
	.section	.rodata,"a",@progbits
	.p2align	6, 0x0
	.amdhsa_kernel _ZL10k_get_rowsILi128ELi1EXadL_ZL15dequantize_q1_0PKvliR15HIP_vector_typeIfLj2EEEEiEvS1_PKiPT2_llS2_IjLj3EEmmmmmmmmm
		.amdhsa_group_segment_fixed_size 0
		.amdhsa_private_segment_fixed_size 0
		.amdhsa_kernarg_size 384
		.amdhsa_user_sgpr_count 2
		.amdhsa_user_sgpr_dispatch_ptr 0
		.amdhsa_user_sgpr_queue_ptr 0
		.amdhsa_user_sgpr_kernarg_segment_ptr 1
		.amdhsa_user_sgpr_dispatch_id 0
		.amdhsa_user_sgpr_kernarg_preload_length 0
		.amdhsa_user_sgpr_kernarg_preload_offset 0
		.amdhsa_user_sgpr_private_segment_size 0
		.amdhsa_uses_dynamic_stack 0
		.amdhsa_enable_private_segment 0
		.amdhsa_system_sgpr_workgroup_id_x 1
		.amdhsa_system_sgpr_workgroup_id_y 1
		.amdhsa_system_sgpr_workgroup_id_z 1
		.amdhsa_system_sgpr_workgroup_info 0
		.amdhsa_system_vgpr_workitem_id 0
		.amdhsa_next_free_vgpr 24
		.amdhsa_next_free_sgpr 50
		.amdhsa_accum_offset 24
		.amdhsa_reserve_vcc 1
		.amdhsa_float_round_mode_32 0
		.amdhsa_float_round_mode_16_64 0
		.amdhsa_float_denorm_mode_32 3
		.amdhsa_float_denorm_mode_16_64 3
		.amdhsa_dx10_clamp 1
		.amdhsa_ieee_mode 1
		.amdhsa_fp16_overflow 0
		.amdhsa_tg_split 0
		.amdhsa_exception_fp_ieee_invalid_op 0
		.amdhsa_exception_fp_denorm_src 0
		.amdhsa_exception_fp_ieee_div_zero 0
		.amdhsa_exception_fp_ieee_overflow 0
		.amdhsa_exception_fp_ieee_underflow 0
		.amdhsa_exception_fp_ieee_inexact 0
		.amdhsa_exception_int_div_zero 0
	.end_amdhsa_kernel
	.section	.text._ZL10k_get_rowsILi128ELi1EXadL_ZL15dequantize_q1_0PKvliR15HIP_vector_typeIfLj2EEEEiEvS1_PKiPT2_llS2_IjLj3EEmmmmmmmmm,"axG",@progbits,_ZL10k_get_rowsILi128ELi1EXadL_ZL15dequantize_q1_0PKvliR15HIP_vector_typeIfLj2EEEEiEvS1_PKiPT2_llS2_IjLj3EEmmmmmmmmm,comdat
.Lfunc_end14:
	.size	_ZL10k_get_rowsILi128ELi1EXadL_ZL15dequantize_q1_0PKvliR15HIP_vector_typeIfLj2EEEEiEvS1_PKiPT2_llS2_IjLj3EEmmmmmmmmm, .Lfunc_end14-_ZL10k_get_rowsILi128ELi1EXadL_ZL15dequantize_q1_0PKvliR15HIP_vector_typeIfLj2EEEEiEvS1_PKiPT2_llS2_IjLj3EEmmmmmmmmm
                                        ; -- End function
	.set _ZL10k_get_rowsILi128ELi1EXadL_ZL15dequantize_q1_0PKvliR15HIP_vector_typeIfLj2EEEEiEvS1_PKiPT2_llS2_IjLj3EEmmmmmmmmm.num_vgpr, 24
	.set _ZL10k_get_rowsILi128ELi1EXadL_ZL15dequantize_q1_0PKvliR15HIP_vector_typeIfLj2EEEEiEvS1_PKiPT2_llS2_IjLj3EEmmmmmmmmm.num_agpr, 0
	.set _ZL10k_get_rowsILi128ELi1EXadL_ZL15dequantize_q1_0PKvliR15HIP_vector_typeIfLj2EEEEiEvS1_PKiPT2_llS2_IjLj3EEmmmmmmmmm.numbered_sgpr, 50
	.set _ZL10k_get_rowsILi128ELi1EXadL_ZL15dequantize_q1_0PKvliR15HIP_vector_typeIfLj2EEEEiEvS1_PKiPT2_llS2_IjLj3EEmmmmmmmmm.num_named_barrier, 0
	.set _ZL10k_get_rowsILi128ELi1EXadL_ZL15dequantize_q1_0PKvliR15HIP_vector_typeIfLj2EEEEiEvS1_PKiPT2_llS2_IjLj3EEmmmmmmmmm.private_seg_size, 0
	.set _ZL10k_get_rowsILi128ELi1EXadL_ZL15dequantize_q1_0PKvliR15HIP_vector_typeIfLj2EEEEiEvS1_PKiPT2_llS2_IjLj3EEmmmmmmmmm.uses_vcc, 1
	.set _ZL10k_get_rowsILi128ELi1EXadL_ZL15dequantize_q1_0PKvliR15HIP_vector_typeIfLj2EEEEiEvS1_PKiPT2_llS2_IjLj3EEmmmmmmmmm.uses_flat_scratch, 0
	.set _ZL10k_get_rowsILi128ELi1EXadL_ZL15dequantize_q1_0PKvliR15HIP_vector_typeIfLj2EEEEiEvS1_PKiPT2_llS2_IjLj3EEmmmmmmmmm.has_dyn_sized_stack, 0
	.set _ZL10k_get_rowsILi128ELi1EXadL_ZL15dequantize_q1_0PKvliR15HIP_vector_typeIfLj2EEEEiEvS1_PKiPT2_llS2_IjLj3EEmmmmmmmmm.has_recursion, 0
	.set _ZL10k_get_rowsILi128ELi1EXadL_ZL15dequantize_q1_0PKvliR15HIP_vector_typeIfLj2EEEEiEvS1_PKiPT2_llS2_IjLj3EEmmmmmmmmm.has_indirect_call, 0
	.section	.AMDGPU.csdata,"",@progbits
; Kernel info:
; codeLenInByte = 840
; TotalNumSgprs: 56
; NumVgprs: 24
; NumAgprs: 0
; TotalNumVgprs: 24
; ScratchSize: 0
; MemoryBound: 0
; FloatMode: 240
; IeeeMode: 1
; LDSByteSize: 0 bytes/workgroup (compile time only)
; SGPRBlocks: 6
; VGPRBlocks: 2
; NumSGPRsForWavesPerEU: 56
; NumVGPRsForWavesPerEU: 24
; AccumOffset: 24
; Occupancy: 8
; WaveLimiterHint : 1
; COMPUTE_PGM_RSRC2:SCRATCH_EN: 0
; COMPUTE_PGM_RSRC2:USER_SGPR: 2
; COMPUTE_PGM_RSRC2:TRAP_HANDLER: 0
; COMPUTE_PGM_RSRC2:TGID_X_EN: 1
; COMPUTE_PGM_RSRC2:TGID_Y_EN: 1
; COMPUTE_PGM_RSRC2:TGID_Z_EN: 1
; COMPUTE_PGM_RSRC2:TIDIG_COMP_CNT: 0
; COMPUTE_PGM_RSRC3_GFX90A:ACCUM_OFFSET: 5
; COMPUTE_PGM_RSRC3_GFX90A:TG_SPLIT: 0
	.section	.text._ZL10k_get_rowsILi32ELi2EXadL_ZL15dequantize_q4_0PKvliR15HIP_vector_typeIfLj2EEEEiEvS1_PKiPT2_llS2_IjLj3EEmmmmmmmmm,"axG",@progbits,_ZL10k_get_rowsILi32ELi2EXadL_ZL15dequantize_q4_0PKvliR15HIP_vector_typeIfLj2EEEEiEvS1_PKiPT2_llS2_IjLj3EEmmmmmmmmm,comdat
	.globl	_ZL10k_get_rowsILi32ELi2EXadL_ZL15dequantize_q4_0PKvliR15HIP_vector_typeIfLj2EEEEiEvS1_PKiPT2_llS2_IjLj3EEmmmmmmmmm ; -- Begin function _ZL10k_get_rowsILi32ELi2EXadL_ZL15dequantize_q4_0PKvliR15HIP_vector_typeIfLj2EEEEiEvS1_PKiPT2_llS2_IjLj3EEmmmmmmmmm
	.p2align	8
	.type	_ZL10k_get_rowsILi32ELi2EXadL_ZL15dequantize_q4_0PKvliR15HIP_vector_typeIfLj2EEEEiEvS1_PKiPT2_llS2_IjLj3EEmmmmmmmmm,@function
_ZL10k_get_rowsILi32ELi2EXadL_ZL15dequantize_q4_0PKvliR15HIP_vector_typeIfLj2EEEEiEvS1_PKiPT2_llS2_IjLj3EEmmmmmmmmm: ; @_ZL10k_get_rowsILi32ELi2EXadL_ZL15dequantize_q4_0PKvliR15HIP_vector_typeIfLj2EEEEiEvS1_PKiPT2_llS2_IjLj3EEmmmmmmmmm
; %bb.0:
	s_load_dwordx4 s[24:27], s[0:1], 0x18
	s_load_dwordx2 s[6:7], s[0:1], 0x2c
	s_mov_b32 s5, 0
	v_mov_b64_e32 v[2:3], s[4:5]
	s_waitcnt lgkmcnt(0)
	s_mul_i32 s8, s27, s7
	s_mul_hi_u32 s9, s26, s7
	s_add_i32 s39, s9, s8
	s_mul_i32 s38, s26, s7
	v_cmp_le_i64_e32 vcc, s[38:39], v[2:3]
	s_cbranch_vccnz .LBB15_6
; %bb.1:
	s_load_dwordx4 s[28:31], s[0:1], 0x0
	s_load_dwordx2 s[40:41], s[0:1], 0x10
	s_load_dwordx2 s[26:27], s[0:1], 0x78
	;; [unrolled: 1-line block ×3, first 2 shown]
	s_load_dword s33, s[0:1], 0x28
	s_load_dwordx16 s[8:23], s[0:1], 0x38
	s_add_u32 s36, s0, 0x80
	s_addc_u32 s37, s1, 0
	s_waitcnt lgkmcnt(0)
	s_and_b32 s35, s35, 0xffff
	s_mul_i32 s3, s3, s35
	v_add_lshl_u32 v0, s3, v0, 1
	s_ashr_i32 s3, s2, 31
	s_mul_hi_u32 s42, s20, s2
	s_mul_i32 s43, s20, s3
	s_add_i32 s42, s42, s43
	s_mul_i32 s21, s21, s2
	s_add_i32 s21, s42, s21
	s_mul_i32 s20, s20, s2
	s_lshl_b64 s[20:21], s[20:21], 2
	s_add_u32 s42, s30, s20
	s_mul_hi_u32 s20, s8, s2
	s_mul_i32 s3, s8, s3
	s_addc_u32 s43, s31, s21
	s_add_i32 s3, s20, s3
	s_mul_i32 s9, s9, s2
	s_add_i32 s3, s3, s9
	s_mul_i32 s2, s8, s2
	s_lshl_b64 s[2:3], s[2:3], 2
	v_mov_b32_e32 v1, 0
	s_add_u32 s44, s40, s2
	v_mov_b64_e32 v[2:3], v[0:1]
	v_cmp_gt_i64_e64 s[0:1], s[24:25], v[0:1]
	s_addc_u32 s45, s41, s3
	v_lshlrev_b64 v[4:5], 27, v[0:1]
	s_movk_i32 s46, 0xffe0
	v_mov_b64_e32 v[6:7], s[38:39]
	s_mov_b64 s[2:3], s[4:5]
	s_branch .LBB15_3
.LBB15_2:                               ;   in Loop: Header=BB15_3 Depth=1
	s_or_b64 exec, exec, s[8:9]
	s_add_u32 s2, s2, s34
	s_addc_u32 s3, s3, 0
	v_cmp_ge_i64_e32 vcc, s[2:3], v[6:7]
	s_cbranch_vccnz .LBB15_6
.LBB15_3:                               ; =>This Loop Header: Depth=1
                                        ;     Child Loop BB15_5 Depth 2
	s_and_saveexec_b64 s[8:9], s[0:1]
	s_cbranch_execz .LBB15_2
; %bb.4:                                ;   in Loop: Header=BB15_3 Depth=1
	s_mul_hi_u32 s4, s2, s33
	s_add_i32 s4, s4, s2
	s_lshr_b32 s4, s4, s6
	s_mul_i32 s20, s4, s7
	s_sub_i32 s38, s2, s20
	s_ashr_i32 s39, s4, 31
	s_mul_i32 s20, s22, s39
	s_mul_hi_u32 s21, s22, s4
	s_ashr_i32 s40, s38, 31
	s_add_i32 s20, s21, s20
	s_mul_i32 s21, s23, s4
	s_mul_i32 s30, s26, s40
	s_mul_hi_u32 s31, s26, s38
	s_add_i32 s21, s20, s21
	s_mul_i32 s20, s22, s4
	s_add_i32 s30, s31, s30
	s_mul_i32 s31, s27, s38
	s_add_i32 s31, s30, s31
	s_lshl_b64 s[20:21], s[20:21], 2
	s_mul_i32 s30, s26, s38
	s_add_u32 s41, s42, s20
	s_addc_u32 s47, s43, s21
	s_lshl_b64 s[20:21], s[30:31], 2
	s_add_u32 s20, s41, s20
	s_addc_u32 s21, s47, s21
	s_load_dword s30, s[20:21], 0x0
	s_mul_i32 s20, s10, s39
	s_mul_hi_u32 s21, s10, s4
	s_add_i32 s20, s21, s20
	s_mul_i32 s21, s11, s4
	s_add_i32 s21, s20, s21
	s_mul_i32 s20, s10, s4
	s_waitcnt lgkmcnt(0)
	s_ashr_i32 s31, s30, 31
	s_lshl_b64 s[20:21], s[20:21], 2
	s_add_u32 s41, s44, s20
	s_addc_u32 s47, s45, s21
	s_mul_i32 s20, s12, s40
	s_mul_hi_u32 s21, s12, s38
	s_add_i32 s20, s21, s20
	s_mul_i32 s21, s13, s38
	s_add_i32 s21, s20, s21
	s_mul_i32 s20, s12, s38
	s_lshl_b64 s[20:21], s[20:21], 2
	s_add_u32 s20, s41, s20
	s_mul_i32 s31, s14, s31
	s_mul_hi_u32 s41, s14, s30
	s_addc_u32 s21, s47, s21
	s_add_i32 s31, s41, s31
	s_mul_i32 s41, s15, s30
	s_add_i32 s31, s31, s41
	s_mul_i32 s30, s14, s30
	s_add_u32 s30, s28, s30
	s_mul_i32 s39, s16, s39
	s_mul_hi_u32 s41, s16, s4
	s_addc_u32 s31, s29, s31
	s_add_i32 s39, s41, s39
	s_mul_i32 s41, s17, s4
	s_add_i32 s39, s39, s41
	s_mul_i32 s4, s16, s4
	s_add_u32 s4, s30, s4
	s_mul_i32 s30, s18, s40
	s_load_dword s40, s[36:37], 0x4
	s_addc_u32 s31, s31, s39
	s_mul_hi_u32 s39, s18, s38
	s_add_i32 s30, s39, s30
	s_mul_i32 s39, s19, s38
	s_add_i32 s39, s30, s39
	s_mul_i32 s30, s18, s38
	s_add_u32 s30, s4, s30
	s_waitcnt lgkmcnt(0)
	s_mul_i32 s4, s40, s35
	s_addc_u32 s31, s31, s39
	s_lshl_b64 s[38:39], s[4:5], 27
	s_mov_b64 s[40:41], 0
	v_mov_b64_e32 v[8:9], v[4:5]
	v_mov_b64_e32 v[10:11], v[2:3]
.LBB15_5:                               ;   Parent Loop BB15_3 Depth=1
                                        ; =>  This Inner Loop Header: Depth=2
	v_bfe_u32 v0, v10, 1, 4
	v_mad_i64_i32 v[12:13], s[48:49], v9, 18, s[30:31]
	v_lshl_add_u64 v[14:15], v[12:13], 0, v[0:1]
	global_load_ushort v16, v[12:13], off
	global_load_ubyte v17, v[14:15], off offset:2
	v_and_or_b32 v12, v10, s46, v0
	v_lshl_add_u64 v[10:11], v[10:11], 0, s[4:5]
	v_ashrrev_i32_e32 v13, 31, v12
	v_cmp_le_i64_e32 vcc, s[24:25], v[10:11]
	v_lshl_add_u64 v[8:9], v[8:9], 0, s[38:39]
	v_lshl_add_u64 v[12:13], v[12:13], 2, s[20:21]
	s_or_b64 s[40:41], vcc, s[40:41]
	s_waitcnt vmcnt(1)
	v_cvt_f32_f16_e32 v0, v16
	s_waitcnt vmcnt(0)
	v_and_b32_e32 v14, 15, v17
	v_lshrrev_b32_e32 v15, 4, v17
	v_add_u32_e32 v14, -8, v14
	v_add_u32_e32 v15, -8, v15
	v_cvt_f32_i32_e32 v14, v14
	v_cvt_f32_i32_e32 v15, v15
	v_mul_f32_e32 v14, v0, v14
	v_mul_f32_e32 v0, v0, v15
	v_cvt_i32_f32_e32 v14, v14
	v_cvt_i32_f32_e32 v0, v0
	global_store_dword v[12:13], v14, off
	global_store_dword v[12:13], v0, off offset:64
	s_andn2_b64 exec, exec, s[40:41]
	s_cbranch_execnz .LBB15_5
	s_branch .LBB15_2
.LBB15_6:
	s_endpgm
	.section	.rodata,"a",@progbits
	.p2align	6, 0x0
	.amdhsa_kernel _ZL10k_get_rowsILi32ELi2EXadL_ZL15dequantize_q4_0PKvliR15HIP_vector_typeIfLj2EEEEiEvS1_PKiPT2_llS2_IjLj3EEmmmmmmmmm
		.amdhsa_group_segment_fixed_size 0
		.amdhsa_private_segment_fixed_size 0
		.amdhsa_kernarg_size 384
		.amdhsa_user_sgpr_count 2
		.amdhsa_user_sgpr_dispatch_ptr 0
		.amdhsa_user_sgpr_queue_ptr 0
		.amdhsa_user_sgpr_kernarg_segment_ptr 1
		.amdhsa_user_sgpr_dispatch_id 0
		.amdhsa_user_sgpr_kernarg_preload_length 0
		.amdhsa_user_sgpr_kernarg_preload_offset 0
		.amdhsa_user_sgpr_private_segment_size 0
		.amdhsa_uses_dynamic_stack 0
		.amdhsa_enable_private_segment 0
		.amdhsa_system_sgpr_workgroup_id_x 1
		.amdhsa_system_sgpr_workgroup_id_y 1
		.amdhsa_system_sgpr_workgroup_id_z 1
		.amdhsa_system_sgpr_workgroup_info 0
		.amdhsa_system_vgpr_workitem_id 0
		.amdhsa_next_free_vgpr 18
		.amdhsa_next_free_sgpr 50
		.amdhsa_accum_offset 20
		.amdhsa_reserve_vcc 1
		.amdhsa_float_round_mode_32 0
		.amdhsa_float_round_mode_16_64 0
		.amdhsa_float_denorm_mode_32 3
		.amdhsa_float_denorm_mode_16_64 3
		.amdhsa_dx10_clamp 1
		.amdhsa_ieee_mode 1
		.amdhsa_fp16_overflow 0
		.amdhsa_tg_split 0
		.amdhsa_exception_fp_ieee_invalid_op 0
		.amdhsa_exception_fp_denorm_src 0
		.amdhsa_exception_fp_ieee_div_zero 0
		.amdhsa_exception_fp_ieee_overflow 0
		.amdhsa_exception_fp_ieee_underflow 0
		.amdhsa_exception_fp_ieee_inexact 0
		.amdhsa_exception_int_div_zero 0
	.end_amdhsa_kernel
	.section	.text._ZL10k_get_rowsILi32ELi2EXadL_ZL15dequantize_q4_0PKvliR15HIP_vector_typeIfLj2EEEEiEvS1_PKiPT2_llS2_IjLj3EEmmmmmmmmm,"axG",@progbits,_ZL10k_get_rowsILi32ELi2EXadL_ZL15dequantize_q4_0PKvliR15HIP_vector_typeIfLj2EEEEiEvS1_PKiPT2_llS2_IjLj3EEmmmmmmmmm,comdat
.Lfunc_end15:
	.size	_ZL10k_get_rowsILi32ELi2EXadL_ZL15dequantize_q4_0PKvliR15HIP_vector_typeIfLj2EEEEiEvS1_PKiPT2_llS2_IjLj3EEmmmmmmmmm, .Lfunc_end15-_ZL10k_get_rowsILi32ELi2EXadL_ZL15dequantize_q4_0PKvliR15HIP_vector_typeIfLj2EEEEiEvS1_PKiPT2_llS2_IjLj3EEmmmmmmmmm
                                        ; -- End function
	.set _ZL10k_get_rowsILi32ELi2EXadL_ZL15dequantize_q4_0PKvliR15HIP_vector_typeIfLj2EEEEiEvS1_PKiPT2_llS2_IjLj3EEmmmmmmmmm.num_vgpr, 18
	.set _ZL10k_get_rowsILi32ELi2EXadL_ZL15dequantize_q4_0PKvliR15HIP_vector_typeIfLj2EEEEiEvS1_PKiPT2_llS2_IjLj3EEmmmmmmmmm.num_agpr, 0
	.set _ZL10k_get_rowsILi32ELi2EXadL_ZL15dequantize_q4_0PKvliR15HIP_vector_typeIfLj2EEEEiEvS1_PKiPT2_llS2_IjLj3EEmmmmmmmmm.numbered_sgpr, 50
	.set _ZL10k_get_rowsILi32ELi2EXadL_ZL15dequantize_q4_0PKvliR15HIP_vector_typeIfLj2EEEEiEvS1_PKiPT2_llS2_IjLj3EEmmmmmmmmm.num_named_barrier, 0
	.set _ZL10k_get_rowsILi32ELi2EXadL_ZL15dequantize_q4_0PKvliR15HIP_vector_typeIfLj2EEEEiEvS1_PKiPT2_llS2_IjLj3EEmmmmmmmmm.private_seg_size, 0
	.set _ZL10k_get_rowsILi32ELi2EXadL_ZL15dequantize_q4_0PKvliR15HIP_vector_typeIfLj2EEEEiEvS1_PKiPT2_llS2_IjLj3EEmmmmmmmmm.uses_vcc, 1
	.set _ZL10k_get_rowsILi32ELi2EXadL_ZL15dequantize_q4_0PKvliR15HIP_vector_typeIfLj2EEEEiEvS1_PKiPT2_llS2_IjLj3EEmmmmmmmmm.uses_flat_scratch, 0
	.set _ZL10k_get_rowsILi32ELi2EXadL_ZL15dequantize_q4_0PKvliR15HIP_vector_typeIfLj2EEEEiEvS1_PKiPT2_llS2_IjLj3EEmmmmmmmmm.has_dyn_sized_stack, 0
	.set _ZL10k_get_rowsILi32ELi2EXadL_ZL15dequantize_q4_0PKvliR15HIP_vector_typeIfLj2EEEEiEvS1_PKiPT2_llS2_IjLj3EEmmmmmmmmm.has_recursion, 0
	.set _ZL10k_get_rowsILi32ELi2EXadL_ZL15dequantize_q4_0PKvliR15HIP_vector_typeIfLj2EEEEiEvS1_PKiPT2_llS2_IjLj3EEmmmmmmmmm.has_indirect_call, 0
	.section	.AMDGPU.csdata,"",@progbits
; Kernel info:
; codeLenInByte = 764
; TotalNumSgprs: 56
; NumVgprs: 18
; NumAgprs: 0
; TotalNumVgprs: 18
; ScratchSize: 0
; MemoryBound: 0
; FloatMode: 240
; IeeeMode: 1
; LDSByteSize: 0 bytes/workgroup (compile time only)
; SGPRBlocks: 6
; VGPRBlocks: 2
; NumSGPRsForWavesPerEU: 56
; NumVGPRsForWavesPerEU: 18
; AccumOffset: 20
; Occupancy: 8
; WaveLimiterHint : 1
; COMPUTE_PGM_RSRC2:SCRATCH_EN: 0
; COMPUTE_PGM_RSRC2:USER_SGPR: 2
; COMPUTE_PGM_RSRC2:TRAP_HANDLER: 0
; COMPUTE_PGM_RSRC2:TGID_X_EN: 1
; COMPUTE_PGM_RSRC2:TGID_Y_EN: 1
; COMPUTE_PGM_RSRC2:TGID_Z_EN: 1
; COMPUTE_PGM_RSRC2:TIDIG_COMP_CNT: 0
; COMPUTE_PGM_RSRC3_GFX90A:ACCUM_OFFSET: 4
; COMPUTE_PGM_RSRC3_GFX90A:TG_SPLIT: 0
	.section	.text._ZL10k_get_rowsILi32ELi2EXadL_ZL15dequantize_q4_1PKvliR15HIP_vector_typeIfLj2EEEEiEvS1_PKiPT2_llS2_IjLj3EEmmmmmmmmm,"axG",@progbits,_ZL10k_get_rowsILi32ELi2EXadL_ZL15dequantize_q4_1PKvliR15HIP_vector_typeIfLj2EEEEiEvS1_PKiPT2_llS2_IjLj3EEmmmmmmmmm,comdat
	.globl	_ZL10k_get_rowsILi32ELi2EXadL_ZL15dequantize_q4_1PKvliR15HIP_vector_typeIfLj2EEEEiEvS1_PKiPT2_llS2_IjLj3EEmmmmmmmmm ; -- Begin function _ZL10k_get_rowsILi32ELi2EXadL_ZL15dequantize_q4_1PKvliR15HIP_vector_typeIfLj2EEEEiEvS1_PKiPT2_llS2_IjLj3EEmmmmmmmmm
	.p2align	8
	.type	_ZL10k_get_rowsILi32ELi2EXadL_ZL15dequantize_q4_1PKvliR15HIP_vector_typeIfLj2EEEEiEvS1_PKiPT2_llS2_IjLj3EEmmmmmmmmm,@function
_ZL10k_get_rowsILi32ELi2EXadL_ZL15dequantize_q4_1PKvliR15HIP_vector_typeIfLj2EEEEiEvS1_PKiPT2_llS2_IjLj3EEmmmmmmmmm: ; @_ZL10k_get_rowsILi32ELi2EXadL_ZL15dequantize_q4_1PKvliR15HIP_vector_typeIfLj2EEEEiEvS1_PKiPT2_llS2_IjLj3EEmmmmmmmmm
; %bb.0:
	s_load_dwordx4 s[24:27], s[0:1], 0x18
	s_load_dwordx2 s[6:7], s[0:1], 0x2c
	s_mov_b32 s5, 0
	v_mov_b64_e32 v[2:3], s[4:5]
	s_waitcnt lgkmcnt(0)
	s_mul_i32 s8, s27, s7
	s_mul_hi_u32 s9, s26, s7
	s_add_i32 s39, s9, s8
	s_mul_i32 s38, s26, s7
	v_cmp_le_i64_e32 vcc, s[38:39], v[2:3]
	s_cbranch_vccnz .LBB16_6
; %bb.1:
	s_load_dwordx4 s[28:31], s[0:1], 0x0
	s_load_dwordx2 s[40:41], s[0:1], 0x10
	s_load_dwordx2 s[26:27], s[0:1], 0x78
	;; [unrolled: 1-line block ×3, first 2 shown]
	s_load_dword s33, s[0:1], 0x28
	s_load_dwordx16 s[8:23], s[0:1], 0x38
	s_add_u32 s36, s0, 0x80
	s_addc_u32 s37, s1, 0
	s_waitcnt lgkmcnt(0)
	s_and_b32 s35, s35, 0xffff
	s_mul_i32 s3, s3, s35
	v_add_lshl_u32 v0, s3, v0, 1
	s_ashr_i32 s3, s2, 31
	s_mul_hi_u32 s42, s20, s2
	s_mul_i32 s43, s20, s3
	s_add_i32 s42, s42, s43
	s_mul_i32 s21, s21, s2
	s_add_i32 s21, s42, s21
	s_mul_i32 s20, s20, s2
	s_lshl_b64 s[20:21], s[20:21], 2
	s_add_u32 s42, s30, s20
	s_mul_hi_u32 s20, s8, s2
	s_mul_i32 s3, s8, s3
	s_addc_u32 s43, s31, s21
	s_add_i32 s3, s20, s3
	s_mul_i32 s9, s9, s2
	s_add_i32 s3, s3, s9
	s_mul_i32 s2, s8, s2
	s_lshl_b64 s[2:3], s[2:3], 2
	v_mov_b32_e32 v1, 0
	s_add_u32 s44, s40, s2
	v_mov_b64_e32 v[2:3], v[0:1]
	v_cmp_gt_i64_e64 s[0:1], s[24:25], v[0:1]
	s_addc_u32 s45, s41, s3
	v_lshlrev_b64 v[4:5], 27, v[0:1]
	s_movk_i32 s46, 0xffe0
	v_mov_b64_e32 v[6:7], s[38:39]
	s_mov_b64 s[2:3], s[4:5]
	s_branch .LBB16_3
.LBB16_2:                               ;   in Loop: Header=BB16_3 Depth=1
	s_or_b64 exec, exec, s[8:9]
	s_add_u32 s2, s2, s34
	s_addc_u32 s3, s3, 0
	v_cmp_ge_i64_e32 vcc, s[2:3], v[6:7]
	s_cbranch_vccnz .LBB16_6
.LBB16_3:                               ; =>This Loop Header: Depth=1
                                        ;     Child Loop BB16_5 Depth 2
	s_and_saveexec_b64 s[8:9], s[0:1]
	s_cbranch_execz .LBB16_2
; %bb.4:                                ;   in Loop: Header=BB16_3 Depth=1
	s_mul_hi_u32 s4, s2, s33
	s_add_i32 s4, s4, s2
	s_lshr_b32 s4, s4, s6
	s_mul_i32 s20, s4, s7
	s_sub_i32 s38, s2, s20
	s_ashr_i32 s39, s4, 31
	s_mul_i32 s20, s22, s39
	s_mul_hi_u32 s21, s22, s4
	s_ashr_i32 s40, s38, 31
	s_add_i32 s20, s21, s20
	s_mul_i32 s21, s23, s4
	s_mul_i32 s30, s26, s40
	s_mul_hi_u32 s31, s26, s38
	s_add_i32 s21, s20, s21
	s_mul_i32 s20, s22, s4
	s_add_i32 s30, s31, s30
	s_mul_i32 s31, s27, s38
	s_add_i32 s31, s30, s31
	s_lshl_b64 s[20:21], s[20:21], 2
	s_mul_i32 s30, s26, s38
	s_add_u32 s41, s42, s20
	s_addc_u32 s47, s43, s21
	s_lshl_b64 s[20:21], s[30:31], 2
	s_add_u32 s20, s41, s20
	s_addc_u32 s21, s47, s21
	s_load_dword s30, s[20:21], 0x0
	s_mul_i32 s20, s10, s39
	s_mul_hi_u32 s21, s10, s4
	s_add_i32 s20, s21, s20
	s_mul_i32 s21, s11, s4
	s_add_i32 s21, s20, s21
	s_mul_i32 s20, s10, s4
	s_waitcnt lgkmcnt(0)
	s_ashr_i32 s31, s30, 31
	s_lshl_b64 s[20:21], s[20:21], 2
	s_add_u32 s41, s44, s20
	s_addc_u32 s47, s45, s21
	s_mul_i32 s20, s12, s40
	s_mul_hi_u32 s21, s12, s38
	s_add_i32 s20, s21, s20
	s_mul_i32 s21, s13, s38
	s_add_i32 s21, s20, s21
	s_mul_i32 s20, s12, s38
	s_lshl_b64 s[20:21], s[20:21], 2
	s_add_u32 s20, s41, s20
	s_mul_i32 s31, s14, s31
	s_mul_hi_u32 s41, s14, s30
	s_addc_u32 s21, s47, s21
	s_add_i32 s31, s41, s31
	s_mul_i32 s41, s15, s30
	s_add_i32 s31, s31, s41
	s_mul_i32 s30, s14, s30
	s_add_u32 s30, s28, s30
	s_mul_i32 s39, s16, s39
	s_mul_hi_u32 s41, s16, s4
	s_addc_u32 s31, s29, s31
	s_add_i32 s39, s41, s39
	s_mul_i32 s41, s17, s4
	s_add_i32 s39, s39, s41
	s_mul_i32 s4, s16, s4
	s_add_u32 s4, s30, s4
	s_mul_i32 s30, s18, s40
	s_load_dword s40, s[36:37], 0x4
	s_addc_u32 s31, s31, s39
	s_mul_hi_u32 s39, s18, s38
	s_add_i32 s30, s39, s30
	s_mul_i32 s39, s19, s38
	s_add_i32 s39, s30, s39
	s_mul_i32 s30, s18, s38
	s_add_u32 s30, s4, s30
	s_waitcnt lgkmcnt(0)
	s_mul_i32 s4, s40, s35
	s_addc_u32 s31, s31, s39
	s_lshl_b64 s[38:39], s[4:5], 27
	s_mov_b64 s[40:41], 0
	v_mov_b64_e32 v[8:9], v[4:5]
	v_mov_b64_e32 v[10:11], v[2:3]
.LBB16_5:                               ;   Parent Loop BB16_3 Depth=1
                                        ; =>  This Inner Loop Header: Depth=2
	v_bfe_u32 v0, v10, 1, 4
	v_mad_i64_i32 v[12:13], s[48:49], v9, 20, s[30:31]
	v_lshl_add_u64 v[14:15], v[12:13], 0, v[0:1]
	global_load_dword v16, v[12:13], off
	global_load_ubyte v17, v[14:15], off offset:4
	v_and_or_b32 v12, v10, s46, v0
	v_lshl_add_u64 v[10:11], v[10:11], 0, s[4:5]
	v_ashrrev_i32_e32 v13, 31, v12
	v_cmp_le_i64_e32 vcc, s[24:25], v[10:11]
	v_lshl_add_u64 v[8:9], v[8:9], 0, s[38:39]
	v_lshl_add_u64 v[12:13], v[12:13], 2, s[20:21]
	s_or_b64 s[40:41], vcc, s[40:41]
	s_waitcnt vmcnt(0)
	v_and_b32_e32 v0, 15, v17
	v_lshrrev_b32_e32 v14, 4, v17
	v_cvt_f32_ubyte0_e32 v0, v0
	v_cvt_f32_ubyte0_e32 v14, v14
	v_fma_mix_f32 v0, v16, v0, v16 op_sel:[0,0,1] op_sel_hi:[1,0,1]
	v_fma_mix_f32 v14, v16, v14, v16 op_sel:[0,0,1] op_sel_hi:[1,0,1]
	v_cvt_i32_f32_e32 v0, v0
	v_cvt_i32_f32_e32 v14, v14
	global_store_dword v[12:13], v0, off
	global_store_dword v[12:13], v14, off offset:64
	s_andn2_b64 exec, exec, s[40:41]
	s_cbranch_execnz .LBB16_5
	s_branch .LBB16_2
.LBB16_6:
	s_endpgm
	.section	.rodata,"a",@progbits
	.p2align	6, 0x0
	.amdhsa_kernel _ZL10k_get_rowsILi32ELi2EXadL_ZL15dequantize_q4_1PKvliR15HIP_vector_typeIfLj2EEEEiEvS1_PKiPT2_llS2_IjLj3EEmmmmmmmmm
		.amdhsa_group_segment_fixed_size 0
		.amdhsa_private_segment_fixed_size 0
		.amdhsa_kernarg_size 384
		.amdhsa_user_sgpr_count 2
		.amdhsa_user_sgpr_dispatch_ptr 0
		.amdhsa_user_sgpr_queue_ptr 0
		.amdhsa_user_sgpr_kernarg_segment_ptr 1
		.amdhsa_user_sgpr_dispatch_id 0
		.amdhsa_user_sgpr_kernarg_preload_length 0
		.amdhsa_user_sgpr_kernarg_preload_offset 0
		.amdhsa_user_sgpr_private_segment_size 0
		.amdhsa_uses_dynamic_stack 0
		.amdhsa_enable_private_segment 0
		.amdhsa_system_sgpr_workgroup_id_x 1
		.amdhsa_system_sgpr_workgroup_id_y 1
		.amdhsa_system_sgpr_workgroup_id_z 1
		.amdhsa_system_sgpr_workgroup_info 0
		.amdhsa_system_vgpr_workitem_id 0
		.amdhsa_next_free_vgpr 18
		.amdhsa_next_free_sgpr 50
		.amdhsa_accum_offset 20
		.amdhsa_reserve_vcc 1
		.amdhsa_float_round_mode_32 0
		.amdhsa_float_round_mode_16_64 0
		.amdhsa_float_denorm_mode_32 3
		.amdhsa_float_denorm_mode_16_64 3
		.amdhsa_dx10_clamp 1
		.amdhsa_ieee_mode 1
		.amdhsa_fp16_overflow 0
		.amdhsa_tg_split 0
		.amdhsa_exception_fp_ieee_invalid_op 0
		.amdhsa_exception_fp_denorm_src 0
		.amdhsa_exception_fp_ieee_div_zero 0
		.amdhsa_exception_fp_ieee_overflow 0
		.amdhsa_exception_fp_ieee_underflow 0
		.amdhsa_exception_fp_ieee_inexact 0
		.amdhsa_exception_int_div_zero 0
	.end_amdhsa_kernel
	.section	.text._ZL10k_get_rowsILi32ELi2EXadL_ZL15dequantize_q4_1PKvliR15HIP_vector_typeIfLj2EEEEiEvS1_PKiPT2_llS2_IjLj3EEmmmmmmmmm,"axG",@progbits,_ZL10k_get_rowsILi32ELi2EXadL_ZL15dequantize_q4_1PKvliR15HIP_vector_typeIfLj2EEEEiEvS1_PKiPT2_llS2_IjLj3EEmmmmmmmmm,comdat
.Lfunc_end16:
	.size	_ZL10k_get_rowsILi32ELi2EXadL_ZL15dequantize_q4_1PKvliR15HIP_vector_typeIfLj2EEEEiEvS1_PKiPT2_llS2_IjLj3EEmmmmmmmmm, .Lfunc_end16-_ZL10k_get_rowsILi32ELi2EXadL_ZL15dequantize_q4_1PKvliR15HIP_vector_typeIfLj2EEEEiEvS1_PKiPT2_llS2_IjLj3EEmmmmmmmmm
                                        ; -- End function
	.set _ZL10k_get_rowsILi32ELi2EXadL_ZL15dequantize_q4_1PKvliR15HIP_vector_typeIfLj2EEEEiEvS1_PKiPT2_llS2_IjLj3EEmmmmmmmmm.num_vgpr, 18
	.set _ZL10k_get_rowsILi32ELi2EXadL_ZL15dequantize_q4_1PKvliR15HIP_vector_typeIfLj2EEEEiEvS1_PKiPT2_llS2_IjLj3EEmmmmmmmmm.num_agpr, 0
	.set _ZL10k_get_rowsILi32ELi2EXadL_ZL15dequantize_q4_1PKvliR15HIP_vector_typeIfLj2EEEEiEvS1_PKiPT2_llS2_IjLj3EEmmmmmmmmm.numbered_sgpr, 50
	.set _ZL10k_get_rowsILi32ELi2EXadL_ZL15dequantize_q4_1PKvliR15HIP_vector_typeIfLj2EEEEiEvS1_PKiPT2_llS2_IjLj3EEmmmmmmmmm.num_named_barrier, 0
	.set _ZL10k_get_rowsILi32ELi2EXadL_ZL15dequantize_q4_1PKvliR15HIP_vector_typeIfLj2EEEEiEvS1_PKiPT2_llS2_IjLj3EEmmmmmmmmm.private_seg_size, 0
	.set _ZL10k_get_rowsILi32ELi2EXadL_ZL15dequantize_q4_1PKvliR15HIP_vector_typeIfLj2EEEEiEvS1_PKiPT2_llS2_IjLj3EEmmmmmmmmm.uses_vcc, 1
	.set _ZL10k_get_rowsILi32ELi2EXadL_ZL15dequantize_q4_1PKvliR15HIP_vector_typeIfLj2EEEEiEvS1_PKiPT2_llS2_IjLj3EEmmmmmmmmm.uses_flat_scratch, 0
	.set _ZL10k_get_rowsILi32ELi2EXadL_ZL15dequantize_q4_1PKvliR15HIP_vector_typeIfLj2EEEEiEvS1_PKiPT2_llS2_IjLj3EEmmmmmmmmm.has_dyn_sized_stack, 0
	.set _ZL10k_get_rowsILi32ELi2EXadL_ZL15dequantize_q4_1PKvliR15HIP_vector_typeIfLj2EEEEiEvS1_PKiPT2_llS2_IjLj3EEmmmmmmmmm.has_recursion, 0
	.set _ZL10k_get_rowsILi32ELi2EXadL_ZL15dequantize_q4_1PKvliR15HIP_vector_typeIfLj2EEEEiEvS1_PKiPT2_llS2_IjLj3EEmmmmmmmmm.has_indirect_call, 0
	.section	.AMDGPU.csdata,"",@progbits
; Kernel info:
; codeLenInByte = 756
; TotalNumSgprs: 56
; NumVgprs: 18
; NumAgprs: 0
; TotalNumVgprs: 18
; ScratchSize: 0
; MemoryBound: 0
; FloatMode: 240
; IeeeMode: 1
; LDSByteSize: 0 bytes/workgroup (compile time only)
; SGPRBlocks: 6
; VGPRBlocks: 2
; NumSGPRsForWavesPerEU: 56
; NumVGPRsForWavesPerEU: 18
; AccumOffset: 20
; Occupancy: 8
; WaveLimiterHint : 1
; COMPUTE_PGM_RSRC2:SCRATCH_EN: 0
; COMPUTE_PGM_RSRC2:USER_SGPR: 2
; COMPUTE_PGM_RSRC2:TRAP_HANDLER: 0
; COMPUTE_PGM_RSRC2:TGID_X_EN: 1
; COMPUTE_PGM_RSRC2:TGID_Y_EN: 1
; COMPUTE_PGM_RSRC2:TGID_Z_EN: 1
; COMPUTE_PGM_RSRC2:TIDIG_COMP_CNT: 0
; COMPUTE_PGM_RSRC3_GFX90A:ACCUM_OFFSET: 4
; COMPUTE_PGM_RSRC3_GFX90A:TG_SPLIT: 0
	.section	.text._ZL10k_get_rowsILi32ELi2EXadL_ZL15dequantize_q5_0PKvliR15HIP_vector_typeIfLj2EEEEiEvS1_PKiPT2_llS2_IjLj3EEmmmmmmmmm,"axG",@progbits,_ZL10k_get_rowsILi32ELi2EXadL_ZL15dequantize_q5_0PKvliR15HIP_vector_typeIfLj2EEEEiEvS1_PKiPT2_llS2_IjLj3EEmmmmmmmmm,comdat
	.globl	_ZL10k_get_rowsILi32ELi2EXadL_ZL15dequantize_q5_0PKvliR15HIP_vector_typeIfLj2EEEEiEvS1_PKiPT2_llS2_IjLj3EEmmmmmmmmm ; -- Begin function _ZL10k_get_rowsILi32ELi2EXadL_ZL15dequantize_q5_0PKvliR15HIP_vector_typeIfLj2EEEEiEvS1_PKiPT2_llS2_IjLj3EEmmmmmmmmm
	.p2align	8
	.type	_ZL10k_get_rowsILi32ELi2EXadL_ZL15dequantize_q5_0PKvliR15HIP_vector_typeIfLj2EEEEiEvS1_PKiPT2_llS2_IjLj3EEmmmmmmmmm,@function
_ZL10k_get_rowsILi32ELi2EXadL_ZL15dequantize_q5_0PKvliR15HIP_vector_typeIfLj2EEEEiEvS1_PKiPT2_llS2_IjLj3EEmmmmmmmmm: ; @_ZL10k_get_rowsILi32ELi2EXadL_ZL15dequantize_q5_0PKvliR15HIP_vector_typeIfLj2EEEEiEvS1_PKiPT2_llS2_IjLj3EEmmmmmmmmm
; %bb.0:
	s_load_dwordx4 s[24:27], s[0:1], 0x18
	s_load_dwordx2 s[6:7], s[0:1], 0x2c
	s_mov_b32 s5, 0
	v_mov_b64_e32 v[2:3], s[4:5]
	s_waitcnt lgkmcnt(0)
	s_mul_i32 s8, s27, s7
	s_mul_hi_u32 s9, s26, s7
	s_add_i32 s39, s9, s8
	s_mul_i32 s38, s26, s7
	v_cmp_le_i64_e32 vcc, s[38:39], v[2:3]
	s_cbranch_vccnz .LBB17_6
; %bb.1:
	s_load_dwordx4 s[28:31], s[0:1], 0x0
	s_load_dwordx2 s[40:41], s[0:1], 0x10
	s_load_dwordx2 s[26:27], s[0:1], 0x78
	;; [unrolled: 1-line block ×3, first 2 shown]
	s_load_dword s33, s[0:1], 0x28
	s_load_dwordx16 s[8:23], s[0:1], 0x38
	s_add_u32 s36, s0, 0x80
	s_addc_u32 s37, s1, 0
	s_waitcnt lgkmcnt(0)
	s_and_b32 s35, s35, 0xffff
	s_mul_i32 s3, s3, s35
	v_add_lshl_u32 v0, s3, v0, 1
	s_ashr_i32 s3, s2, 31
	s_mul_hi_u32 s42, s20, s2
	s_mul_i32 s43, s20, s3
	s_add_i32 s42, s42, s43
	s_mul_i32 s21, s21, s2
	s_add_i32 s21, s42, s21
	s_mul_i32 s20, s20, s2
	s_lshl_b64 s[20:21], s[20:21], 2
	s_add_u32 s42, s30, s20
	s_mul_hi_u32 s20, s8, s2
	s_mul_i32 s3, s8, s3
	s_addc_u32 s43, s31, s21
	s_add_i32 s3, s20, s3
	s_mul_i32 s9, s9, s2
	s_add_i32 s3, s3, s9
	s_mul_i32 s2, s8, s2
	s_lshl_b64 s[2:3], s[2:3], 2
	v_mov_b32_e32 v1, 0
	s_add_u32 s44, s40, s2
	v_mov_b64_e32 v[2:3], v[0:1]
	v_cmp_gt_i64_e64 s[0:1], s[24:25], v[0:1]
	s_addc_u32 s45, s41, s3
	v_lshlrev_b64 v[4:5], 27, v[0:1]
	s_mov_b32 s46, 0x1000706
	s_movk_i32 s47, 0xffe0
	v_mov_b64_e32 v[6:7], s[38:39]
	s_mov_b64 s[2:3], s[4:5]
	s_branch .LBB17_3
.LBB17_2:                               ;   in Loop: Header=BB17_3 Depth=1
	s_or_b64 exec, exec, s[8:9]
	s_add_u32 s2, s2, s34
	s_addc_u32 s3, s3, 0
	v_cmp_ge_i64_e32 vcc, s[2:3], v[6:7]
	s_cbranch_vccnz .LBB17_6
.LBB17_3:                               ; =>This Loop Header: Depth=1
                                        ;     Child Loop BB17_5 Depth 2
	s_and_saveexec_b64 s[8:9], s[0:1]
	s_cbranch_execz .LBB17_2
; %bb.4:                                ;   in Loop: Header=BB17_3 Depth=1
	s_mul_hi_u32 s4, s2, s33
	s_add_i32 s4, s4, s2
	s_lshr_b32 s4, s4, s6
	s_mul_i32 s20, s4, s7
	s_sub_i32 s38, s2, s20
	s_ashr_i32 s39, s4, 31
	s_mul_i32 s20, s22, s39
	s_mul_hi_u32 s21, s22, s4
	s_ashr_i32 s40, s38, 31
	s_add_i32 s20, s21, s20
	s_mul_i32 s21, s23, s4
	s_mul_i32 s30, s26, s40
	s_mul_hi_u32 s31, s26, s38
	s_add_i32 s21, s20, s21
	s_mul_i32 s20, s22, s4
	s_add_i32 s30, s31, s30
	s_mul_i32 s31, s27, s38
	s_add_i32 s31, s30, s31
	s_lshl_b64 s[20:21], s[20:21], 2
	s_mul_i32 s30, s26, s38
	s_add_u32 s41, s42, s20
	s_addc_u32 s48, s43, s21
	s_lshl_b64 s[20:21], s[30:31], 2
	s_add_u32 s20, s41, s20
	s_addc_u32 s21, s48, s21
	s_load_dword s30, s[20:21], 0x0
	s_mul_i32 s20, s10, s39
	s_mul_hi_u32 s21, s10, s4
	s_add_i32 s20, s21, s20
	s_mul_i32 s21, s11, s4
	s_add_i32 s21, s20, s21
	s_mul_i32 s20, s10, s4
	s_waitcnt lgkmcnt(0)
	s_ashr_i32 s31, s30, 31
	s_lshl_b64 s[20:21], s[20:21], 2
	s_add_u32 s41, s44, s20
	s_addc_u32 s48, s45, s21
	s_mul_i32 s20, s12, s40
	s_mul_hi_u32 s21, s12, s38
	s_add_i32 s20, s21, s20
	s_mul_i32 s21, s13, s38
	s_add_i32 s21, s20, s21
	s_mul_i32 s20, s12, s38
	s_lshl_b64 s[20:21], s[20:21], 2
	s_add_u32 s20, s41, s20
	s_mul_i32 s31, s14, s31
	s_mul_hi_u32 s41, s14, s30
	s_addc_u32 s21, s48, s21
	s_add_i32 s31, s41, s31
	s_mul_i32 s41, s15, s30
	s_add_i32 s31, s31, s41
	s_mul_i32 s30, s14, s30
	s_add_u32 s30, s28, s30
	s_mul_i32 s39, s16, s39
	s_mul_hi_u32 s41, s16, s4
	s_addc_u32 s31, s29, s31
	s_add_i32 s39, s41, s39
	s_mul_i32 s41, s17, s4
	s_add_i32 s39, s39, s41
	s_mul_i32 s4, s16, s4
	s_add_u32 s4, s30, s4
	s_mul_i32 s30, s18, s40
	s_load_dword s40, s[36:37], 0x4
	s_addc_u32 s31, s31, s39
	s_mul_hi_u32 s39, s18, s38
	s_add_i32 s30, s39, s30
	s_mul_i32 s39, s19, s38
	s_add_i32 s39, s30, s39
	s_mul_i32 s30, s18, s38
	s_add_u32 s30, s4, s30
	s_waitcnt lgkmcnt(0)
	s_mul_i32 s4, s40, s35
	s_addc_u32 s31, s31, s39
	s_lshl_b64 s[38:39], s[4:5], 27
	s_mov_b64 s[40:41], 0
	v_mov_b64_e32 v[8:9], v[4:5]
	v_mov_b64_e32 v[10:11], v[2:3]
.LBB17_5:                               ;   Parent Loop BB17_3 Depth=1
                                        ; =>  This Inner Loop Header: Depth=2
	v_bfe_u32 v0, v10, 1, 4
	v_mad_i64_i32 v[12:13], s[48:49], v9, 22, s[30:31]
	global_load_dword v14, v[12:13], off
	global_load_ushort v15, v[12:13], off offset:4
	v_lshl_add_u64 v[12:13], v[12:13], 0, v[0:1]
	global_load_ubyte v16, v[12:13], off offset:6
	v_add_u32_e32 v17, 12, v0
	v_and_or_b32 v12, v10, s47, v0
	v_lshl_add_u64 v[10:11], v[10:11], 0, s[4:5]
	v_ashrrev_i32_e32 v13, 31, v12
	v_cmp_le_i64_e32 vcc, s[24:25], v[10:11]
	v_lshl_add_u64 v[8:9], v[8:9], 0, s[38:39]
	v_lshl_add_u64 v[12:13], v[12:13], 2, s[20:21]
	s_or_b64 s[40:41], vcc, s[40:41]
	s_waitcnt vmcnt(2)
	v_cvt_f32_f16_e32 v18, v14
	s_waitcnt vmcnt(1)
	v_perm_b32 v14, v14, v15, s46
	v_lshrrev_b32_e32 v0, v0, v14
	v_lshrrev_b32_e32 v14, v17, v14
	s_waitcnt vmcnt(0)
	v_lshrrev_b16_e32 v15, 4, v16
	v_lshlrev_b32_e32 v0, 4, v0
	v_and_b32_e32 v14, 16, v14
	v_or_b32_e32 v15, -16, v15
	v_or_b32_e32 v16, -16, v16
	v_and_b32_e32 v0, 16, v0
	v_add_u32_sdwa v14, v14, sext(v15) dst_sel:DWORD dst_unused:UNUSED_PAD src0_sel:DWORD src1_sel:WORD_0
	v_add_u32_e32 v0, v16, v0
	v_cvt_f32_i32_e32 v14, v14
	v_cvt_f32_i32_e32 v0, v0
	v_mul_f32_e32 v14, v18, v14
	v_mul_f32_e32 v0, v18, v0
	v_cvt_i32_f32_e32 v14, v14
	v_cvt_i32_f32_e32 v0, v0
	global_store_dword v[12:13], v14, off offset:64
	global_store_dword v[12:13], v0, off
	s_andn2_b64 exec, exec, s[40:41]
	s_cbranch_execnz .LBB17_5
	s_branch .LBB17_2
.LBB17_6:
	s_endpgm
	.section	.rodata,"a",@progbits
	.p2align	6, 0x0
	.amdhsa_kernel _ZL10k_get_rowsILi32ELi2EXadL_ZL15dequantize_q5_0PKvliR15HIP_vector_typeIfLj2EEEEiEvS1_PKiPT2_llS2_IjLj3EEmmmmmmmmm
		.amdhsa_group_segment_fixed_size 0
		.amdhsa_private_segment_fixed_size 0
		.amdhsa_kernarg_size 384
		.amdhsa_user_sgpr_count 2
		.amdhsa_user_sgpr_dispatch_ptr 0
		.amdhsa_user_sgpr_queue_ptr 0
		.amdhsa_user_sgpr_kernarg_segment_ptr 1
		.amdhsa_user_sgpr_dispatch_id 0
		.amdhsa_user_sgpr_kernarg_preload_length 0
		.amdhsa_user_sgpr_kernarg_preload_offset 0
		.amdhsa_user_sgpr_private_segment_size 0
		.amdhsa_uses_dynamic_stack 0
		.amdhsa_enable_private_segment 0
		.amdhsa_system_sgpr_workgroup_id_x 1
		.amdhsa_system_sgpr_workgroup_id_y 1
		.amdhsa_system_sgpr_workgroup_id_z 1
		.amdhsa_system_sgpr_workgroup_info 0
		.amdhsa_system_vgpr_workitem_id 0
		.amdhsa_next_free_vgpr 19
		.amdhsa_next_free_sgpr 50
		.amdhsa_accum_offset 20
		.amdhsa_reserve_vcc 1
		.amdhsa_float_round_mode_32 0
		.amdhsa_float_round_mode_16_64 0
		.amdhsa_float_denorm_mode_32 3
		.amdhsa_float_denorm_mode_16_64 3
		.amdhsa_dx10_clamp 1
		.amdhsa_ieee_mode 1
		.amdhsa_fp16_overflow 0
		.amdhsa_tg_split 0
		.amdhsa_exception_fp_ieee_invalid_op 0
		.amdhsa_exception_fp_denorm_src 0
		.amdhsa_exception_fp_ieee_div_zero 0
		.amdhsa_exception_fp_ieee_overflow 0
		.amdhsa_exception_fp_ieee_underflow 0
		.amdhsa_exception_fp_ieee_inexact 0
		.amdhsa_exception_int_div_zero 0
	.end_amdhsa_kernel
	.section	.text._ZL10k_get_rowsILi32ELi2EXadL_ZL15dequantize_q5_0PKvliR15HIP_vector_typeIfLj2EEEEiEvS1_PKiPT2_llS2_IjLj3EEmmmmmmmmm,"axG",@progbits,_ZL10k_get_rowsILi32ELi2EXadL_ZL15dequantize_q5_0PKvliR15HIP_vector_typeIfLj2EEEEiEvS1_PKiPT2_llS2_IjLj3EEmmmmmmmmm,comdat
.Lfunc_end17:
	.size	_ZL10k_get_rowsILi32ELi2EXadL_ZL15dequantize_q5_0PKvliR15HIP_vector_typeIfLj2EEEEiEvS1_PKiPT2_llS2_IjLj3EEmmmmmmmmm, .Lfunc_end17-_ZL10k_get_rowsILi32ELi2EXadL_ZL15dequantize_q5_0PKvliR15HIP_vector_typeIfLj2EEEEiEvS1_PKiPT2_llS2_IjLj3EEmmmmmmmmm
                                        ; -- End function
	.set _ZL10k_get_rowsILi32ELi2EXadL_ZL15dequantize_q5_0PKvliR15HIP_vector_typeIfLj2EEEEiEvS1_PKiPT2_llS2_IjLj3EEmmmmmmmmm.num_vgpr, 19
	.set _ZL10k_get_rowsILi32ELi2EXadL_ZL15dequantize_q5_0PKvliR15HIP_vector_typeIfLj2EEEEiEvS1_PKiPT2_llS2_IjLj3EEmmmmmmmmm.num_agpr, 0
	.set _ZL10k_get_rowsILi32ELi2EXadL_ZL15dequantize_q5_0PKvliR15HIP_vector_typeIfLj2EEEEiEvS1_PKiPT2_llS2_IjLj3EEmmmmmmmmm.numbered_sgpr, 50
	.set _ZL10k_get_rowsILi32ELi2EXadL_ZL15dequantize_q5_0PKvliR15HIP_vector_typeIfLj2EEEEiEvS1_PKiPT2_llS2_IjLj3EEmmmmmmmmm.num_named_barrier, 0
	.set _ZL10k_get_rowsILi32ELi2EXadL_ZL15dequantize_q5_0PKvliR15HIP_vector_typeIfLj2EEEEiEvS1_PKiPT2_llS2_IjLj3EEmmmmmmmmm.private_seg_size, 0
	.set _ZL10k_get_rowsILi32ELi2EXadL_ZL15dequantize_q5_0PKvliR15HIP_vector_typeIfLj2EEEEiEvS1_PKiPT2_llS2_IjLj3EEmmmmmmmmm.uses_vcc, 1
	.set _ZL10k_get_rowsILi32ELi2EXadL_ZL15dequantize_q5_0PKvliR15HIP_vector_typeIfLj2EEEEiEvS1_PKiPT2_llS2_IjLj3EEmmmmmmmmm.uses_flat_scratch, 0
	.set _ZL10k_get_rowsILi32ELi2EXadL_ZL15dequantize_q5_0PKvliR15HIP_vector_typeIfLj2EEEEiEvS1_PKiPT2_llS2_IjLj3EEmmmmmmmmm.has_dyn_sized_stack, 0
	.set _ZL10k_get_rowsILi32ELi2EXadL_ZL15dequantize_q5_0PKvliR15HIP_vector_typeIfLj2EEEEiEvS1_PKiPT2_llS2_IjLj3EEmmmmmmmmm.has_recursion, 0
	.set _ZL10k_get_rowsILi32ELi2EXadL_ZL15dequantize_q5_0PKvliR15HIP_vector_typeIfLj2EEEEiEvS1_PKiPT2_llS2_IjLj3EEmmmmmmmmm.has_indirect_call, 0
	.section	.AMDGPU.csdata,"",@progbits
; Kernel info:
; codeLenInByte = 824
; TotalNumSgprs: 56
; NumVgprs: 19
; NumAgprs: 0
; TotalNumVgprs: 19
; ScratchSize: 0
; MemoryBound: 0
; FloatMode: 240
; IeeeMode: 1
; LDSByteSize: 0 bytes/workgroup (compile time only)
; SGPRBlocks: 6
; VGPRBlocks: 2
; NumSGPRsForWavesPerEU: 56
; NumVGPRsForWavesPerEU: 19
; AccumOffset: 20
; Occupancy: 8
; WaveLimiterHint : 1
; COMPUTE_PGM_RSRC2:SCRATCH_EN: 0
; COMPUTE_PGM_RSRC2:USER_SGPR: 2
; COMPUTE_PGM_RSRC2:TRAP_HANDLER: 0
; COMPUTE_PGM_RSRC2:TGID_X_EN: 1
; COMPUTE_PGM_RSRC2:TGID_Y_EN: 1
; COMPUTE_PGM_RSRC2:TGID_Z_EN: 1
; COMPUTE_PGM_RSRC2:TIDIG_COMP_CNT: 0
; COMPUTE_PGM_RSRC3_GFX90A:ACCUM_OFFSET: 4
; COMPUTE_PGM_RSRC3_GFX90A:TG_SPLIT: 0
	.section	.text._ZL10k_get_rowsILi32ELi2EXadL_ZL15dequantize_q5_1PKvliR15HIP_vector_typeIfLj2EEEEiEvS1_PKiPT2_llS2_IjLj3EEmmmmmmmmm,"axG",@progbits,_ZL10k_get_rowsILi32ELi2EXadL_ZL15dequantize_q5_1PKvliR15HIP_vector_typeIfLj2EEEEiEvS1_PKiPT2_llS2_IjLj3EEmmmmmmmmm,comdat
	.globl	_ZL10k_get_rowsILi32ELi2EXadL_ZL15dequantize_q5_1PKvliR15HIP_vector_typeIfLj2EEEEiEvS1_PKiPT2_llS2_IjLj3EEmmmmmmmmm ; -- Begin function _ZL10k_get_rowsILi32ELi2EXadL_ZL15dequantize_q5_1PKvliR15HIP_vector_typeIfLj2EEEEiEvS1_PKiPT2_llS2_IjLj3EEmmmmmmmmm
	.p2align	8
	.type	_ZL10k_get_rowsILi32ELi2EXadL_ZL15dequantize_q5_1PKvliR15HIP_vector_typeIfLj2EEEEiEvS1_PKiPT2_llS2_IjLj3EEmmmmmmmmm,@function
_ZL10k_get_rowsILi32ELi2EXadL_ZL15dequantize_q5_1PKvliR15HIP_vector_typeIfLj2EEEEiEvS1_PKiPT2_llS2_IjLj3EEmmmmmmmmm: ; @_ZL10k_get_rowsILi32ELi2EXadL_ZL15dequantize_q5_1PKvliR15HIP_vector_typeIfLj2EEEEiEvS1_PKiPT2_llS2_IjLj3EEmmmmmmmmm
; %bb.0:
	s_load_dwordx4 s[24:27], s[0:1], 0x18
	s_load_dwordx2 s[6:7], s[0:1], 0x2c
	s_mov_b32 s5, 0
	v_mov_b64_e32 v[2:3], s[4:5]
	s_waitcnt lgkmcnt(0)
	s_mul_i32 s8, s27, s7
	s_mul_hi_u32 s9, s26, s7
	s_add_i32 s39, s9, s8
	s_mul_i32 s38, s26, s7
	v_cmp_le_i64_e32 vcc, s[38:39], v[2:3]
	s_cbranch_vccnz .LBB18_6
; %bb.1:
	s_load_dwordx4 s[28:31], s[0:1], 0x0
	s_load_dwordx2 s[40:41], s[0:1], 0x10
	s_load_dwordx2 s[26:27], s[0:1], 0x78
	;; [unrolled: 1-line block ×3, first 2 shown]
	s_load_dword s33, s[0:1], 0x28
	s_load_dwordx16 s[8:23], s[0:1], 0x38
	s_add_u32 s36, s0, 0x80
	s_addc_u32 s37, s1, 0
	s_waitcnt lgkmcnt(0)
	s_and_b32 s35, s35, 0xffff
	s_mul_i32 s3, s3, s35
	v_add_lshl_u32 v0, s3, v0, 1
	s_ashr_i32 s3, s2, 31
	s_mul_hi_u32 s42, s20, s2
	s_mul_i32 s43, s20, s3
	s_add_i32 s42, s42, s43
	s_mul_i32 s21, s21, s2
	s_add_i32 s21, s42, s21
	s_mul_i32 s20, s20, s2
	s_lshl_b64 s[20:21], s[20:21], 2
	s_add_u32 s42, s30, s20
	s_mul_hi_u32 s20, s8, s2
	s_mul_i32 s3, s8, s3
	s_addc_u32 s43, s31, s21
	s_add_i32 s3, s20, s3
	s_mul_i32 s9, s9, s2
	s_add_i32 s3, s3, s9
	s_mul_i32 s2, s8, s2
	s_lshl_b64 s[2:3], s[2:3], 2
	v_mov_b32_e32 v1, 0
	s_add_u32 s44, s40, s2
	v_mov_b64_e32 v[2:3], v[0:1]
	v_cmp_gt_i64_e64 s[0:1], s[24:25], v[0:1]
	s_addc_u32 s45, s41, s3
	v_lshlrev_b64 v[4:5], 27, v[0:1]
	s_movk_i32 s46, 0xffe0
	v_mov_b64_e32 v[6:7], s[38:39]
	s_mov_b64 s[2:3], s[4:5]
	s_branch .LBB18_3
.LBB18_2:                               ;   in Loop: Header=BB18_3 Depth=1
	s_or_b64 exec, exec, s[8:9]
	s_add_u32 s2, s2, s34
	s_addc_u32 s3, s3, 0
	v_cmp_ge_i64_e32 vcc, s[2:3], v[6:7]
	s_cbranch_vccnz .LBB18_6
.LBB18_3:                               ; =>This Loop Header: Depth=1
                                        ;     Child Loop BB18_5 Depth 2
	s_and_saveexec_b64 s[8:9], s[0:1]
	s_cbranch_execz .LBB18_2
; %bb.4:                                ;   in Loop: Header=BB18_3 Depth=1
	s_mul_hi_u32 s4, s2, s33
	s_add_i32 s4, s4, s2
	s_lshr_b32 s4, s4, s6
	s_mul_i32 s20, s4, s7
	s_sub_i32 s38, s2, s20
	s_ashr_i32 s39, s4, 31
	s_mul_i32 s20, s22, s39
	s_mul_hi_u32 s21, s22, s4
	s_ashr_i32 s40, s38, 31
	s_add_i32 s20, s21, s20
	s_mul_i32 s21, s23, s4
	s_mul_i32 s30, s26, s40
	s_mul_hi_u32 s31, s26, s38
	s_add_i32 s21, s20, s21
	s_mul_i32 s20, s22, s4
	s_add_i32 s30, s31, s30
	s_mul_i32 s31, s27, s38
	s_add_i32 s31, s30, s31
	s_lshl_b64 s[20:21], s[20:21], 2
	s_mul_i32 s30, s26, s38
	s_add_u32 s41, s42, s20
	s_addc_u32 s47, s43, s21
	s_lshl_b64 s[20:21], s[30:31], 2
	s_add_u32 s20, s41, s20
	s_addc_u32 s21, s47, s21
	s_load_dword s30, s[20:21], 0x0
	s_mul_i32 s20, s10, s39
	s_mul_hi_u32 s21, s10, s4
	s_add_i32 s20, s21, s20
	s_mul_i32 s21, s11, s4
	s_add_i32 s21, s20, s21
	s_mul_i32 s20, s10, s4
	s_waitcnt lgkmcnt(0)
	s_ashr_i32 s31, s30, 31
	s_lshl_b64 s[20:21], s[20:21], 2
	s_add_u32 s41, s44, s20
	s_addc_u32 s47, s45, s21
	s_mul_i32 s20, s12, s40
	s_mul_hi_u32 s21, s12, s38
	s_add_i32 s20, s21, s20
	s_mul_i32 s21, s13, s38
	s_add_i32 s21, s20, s21
	s_mul_i32 s20, s12, s38
	s_lshl_b64 s[20:21], s[20:21], 2
	s_add_u32 s20, s41, s20
	s_mul_i32 s31, s14, s31
	s_mul_hi_u32 s41, s14, s30
	s_addc_u32 s21, s47, s21
	s_add_i32 s31, s41, s31
	s_mul_i32 s41, s15, s30
	s_add_i32 s31, s31, s41
	s_mul_i32 s30, s14, s30
	s_add_u32 s30, s28, s30
	s_mul_i32 s39, s16, s39
	s_mul_hi_u32 s41, s16, s4
	s_addc_u32 s31, s29, s31
	s_add_i32 s39, s41, s39
	s_mul_i32 s41, s17, s4
	s_add_i32 s39, s39, s41
	s_mul_i32 s4, s16, s4
	s_add_u32 s4, s30, s4
	s_mul_i32 s30, s18, s40
	s_load_dword s40, s[36:37], 0x4
	s_addc_u32 s31, s31, s39
	s_mul_hi_u32 s39, s18, s38
	s_add_i32 s30, s39, s30
	s_mul_i32 s39, s19, s38
	s_add_i32 s39, s30, s39
	s_mul_i32 s30, s18, s38
	s_add_u32 s30, s4, s30
	s_waitcnt lgkmcnt(0)
	s_mul_i32 s4, s40, s35
	s_addc_u32 s31, s31, s39
	s_lshl_b64 s[38:39], s[4:5], 27
	s_mov_b64 s[40:41], 0
	v_mov_b64_e32 v[8:9], v[4:5]
	v_mov_b64_e32 v[10:11], v[2:3]
.LBB18_5:                               ;   Parent Loop BB18_3 Depth=1
                                        ; =>  This Inner Loop Header: Depth=2
	v_bfe_u32 v0, v10, 1, 4
	v_mad_i64_i32 v[12:13], s[48:49], v9, 24, s[30:31]
	global_load_dwordx2 v[14:15], v[12:13], off
	v_lshl_add_u64 v[12:13], v[12:13], 0, v[0:1]
	global_load_ubyte v16, v[12:13], off offset:8
	v_add_u32_e32 v17, 12, v0
	v_and_or_b32 v12, v10, s46, v0
	v_lshl_add_u64 v[10:11], v[10:11], 0, s[4:5]
	v_ashrrev_i32_e32 v13, 31, v12
	v_cmp_le_i64_e32 vcc, s[24:25], v[10:11]
	v_lshl_add_u64 v[8:9], v[8:9], 0, s[38:39]
	v_lshl_add_u64 v[12:13], v[12:13], 2, s[20:21]
	s_or_b64 s[40:41], vcc, s[40:41]
	s_waitcnt vmcnt(1)
	v_lshrrev_b32_e32 v0, v0, v15
	v_lshrrev_b32_e32 v15, v17, v15
	v_lshlrev_b32_e32 v0, 4, v0
	s_waitcnt vmcnt(0)
	v_and_b32_e32 v17, 15, v16
	v_lshrrev_b16_e32 v16, 4, v16
	v_and_or_b32 v0, v0, 16, v17
	v_and_or_b32 v15, v15, 16, v16
	v_cvt_f32_ubyte0_e32 v0, v0
	v_cvt_f32_ubyte0_e32 v15, v15
	v_fma_mix_f32 v0, v14, v0, v14 op_sel:[0,0,1] op_sel_hi:[1,0,1]
	v_fma_mix_f32 v14, v14, v15, v14 op_sel:[0,0,1] op_sel_hi:[1,0,1]
	v_cvt_i32_f32_e32 v0, v0
	v_cvt_i32_f32_e32 v14, v14
	global_store_dword v[12:13], v0, off
	global_store_dword v[12:13], v14, off offset:64
	s_andn2_b64 exec, exec, s[40:41]
	s_cbranch_execnz .LBB18_5
	s_branch .LBB18_2
.LBB18_6:
	s_endpgm
	.section	.rodata,"a",@progbits
	.p2align	6, 0x0
	.amdhsa_kernel _ZL10k_get_rowsILi32ELi2EXadL_ZL15dequantize_q5_1PKvliR15HIP_vector_typeIfLj2EEEEiEvS1_PKiPT2_llS2_IjLj3EEmmmmmmmmm
		.amdhsa_group_segment_fixed_size 0
		.amdhsa_private_segment_fixed_size 0
		.amdhsa_kernarg_size 384
		.amdhsa_user_sgpr_count 2
		.amdhsa_user_sgpr_dispatch_ptr 0
		.amdhsa_user_sgpr_queue_ptr 0
		.amdhsa_user_sgpr_kernarg_segment_ptr 1
		.amdhsa_user_sgpr_dispatch_id 0
		.amdhsa_user_sgpr_kernarg_preload_length 0
		.amdhsa_user_sgpr_kernarg_preload_offset 0
		.amdhsa_user_sgpr_private_segment_size 0
		.amdhsa_uses_dynamic_stack 0
		.amdhsa_enable_private_segment 0
		.amdhsa_system_sgpr_workgroup_id_x 1
		.amdhsa_system_sgpr_workgroup_id_y 1
		.amdhsa_system_sgpr_workgroup_id_z 1
		.amdhsa_system_sgpr_workgroup_info 0
		.amdhsa_system_vgpr_workitem_id 0
		.amdhsa_next_free_vgpr 18
		.amdhsa_next_free_sgpr 50
		.amdhsa_accum_offset 20
		.amdhsa_reserve_vcc 1
		.amdhsa_float_round_mode_32 0
		.amdhsa_float_round_mode_16_64 0
		.amdhsa_float_denorm_mode_32 3
		.amdhsa_float_denorm_mode_16_64 3
		.amdhsa_dx10_clamp 1
		.amdhsa_ieee_mode 1
		.amdhsa_fp16_overflow 0
		.amdhsa_tg_split 0
		.amdhsa_exception_fp_ieee_invalid_op 0
		.amdhsa_exception_fp_denorm_src 0
		.amdhsa_exception_fp_ieee_div_zero 0
		.amdhsa_exception_fp_ieee_overflow 0
		.amdhsa_exception_fp_ieee_underflow 0
		.amdhsa_exception_fp_ieee_inexact 0
		.amdhsa_exception_int_div_zero 0
	.end_amdhsa_kernel
	.section	.text._ZL10k_get_rowsILi32ELi2EXadL_ZL15dequantize_q5_1PKvliR15HIP_vector_typeIfLj2EEEEiEvS1_PKiPT2_llS2_IjLj3EEmmmmmmmmm,"axG",@progbits,_ZL10k_get_rowsILi32ELi2EXadL_ZL15dequantize_q5_1PKvliR15HIP_vector_typeIfLj2EEEEiEvS1_PKiPT2_llS2_IjLj3EEmmmmmmmmm,comdat
.Lfunc_end18:
	.size	_ZL10k_get_rowsILi32ELi2EXadL_ZL15dequantize_q5_1PKvliR15HIP_vector_typeIfLj2EEEEiEvS1_PKiPT2_llS2_IjLj3EEmmmmmmmmm, .Lfunc_end18-_ZL10k_get_rowsILi32ELi2EXadL_ZL15dequantize_q5_1PKvliR15HIP_vector_typeIfLj2EEEEiEvS1_PKiPT2_llS2_IjLj3EEmmmmmmmmm
                                        ; -- End function
	.set _ZL10k_get_rowsILi32ELi2EXadL_ZL15dequantize_q5_1PKvliR15HIP_vector_typeIfLj2EEEEiEvS1_PKiPT2_llS2_IjLj3EEmmmmmmmmm.num_vgpr, 18
	.set _ZL10k_get_rowsILi32ELi2EXadL_ZL15dequantize_q5_1PKvliR15HIP_vector_typeIfLj2EEEEiEvS1_PKiPT2_llS2_IjLj3EEmmmmmmmmm.num_agpr, 0
	.set _ZL10k_get_rowsILi32ELi2EXadL_ZL15dequantize_q5_1PKvliR15HIP_vector_typeIfLj2EEEEiEvS1_PKiPT2_llS2_IjLj3EEmmmmmmmmm.numbered_sgpr, 50
	.set _ZL10k_get_rowsILi32ELi2EXadL_ZL15dequantize_q5_1PKvliR15HIP_vector_typeIfLj2EEEEiEvS1_PKiPT2_llS2_IjLj3EEmmmmmmmmm.num_named_barrier, 0
	.set _ZL10k_get_rowsILi32ELi2EXadL_ZL15dequantize_q5_1PKvliR15HIP_vector_typeIfLj2EEEEiEvS1_PKiPT2_llS2_IjLj3EEmmmmmmmmm.private_seg_size, 0
	.set _ZL10k_get_rowsILi32ELi2EXadL_ZL15dequantize_q5_1PKvliR15HIP_vector_typeIfLj2EEEEiEvS1_PKiPT2_llS2_IjLj3EEmmmmmmmmm.uses_vcc, 1
	.set _ZL10k_get_rowsILi32ELi2EXadL_ZL15dequantize_q5_1PKvliR15HIP_vector_typeIfLj2EEEEiEvS1_PKiPT2_llS2_IjLj3EEmmmmmmmmm.uses_flat_scratch, 0
	.set _ZL10k_get_rowsILi32ELi2EXadL_ZL15dequantize_q5_1PKvliR15HIP_vector_typeIfLj2EEEEiEvS1_PKiPT2_llS2_IjLj3EEmmmmmmmmm.has_dyn_sized_stack, 0
	.set _ZL10k_get_rowsILi32ELi2EXadL_ZL15dequantize_q5_1PKvliR15HIP_vector_typeIfLj2EEEEiEvS1_PKiPT2_llS2_IjLj3EEmmmmmmmmm.has_recursion, 0
	.set _ZL10k_get_rowsILi32ELi2EXadL_ZL15dequantize_q5_1PKvliR15HIP_vector_typeIfLj2EEEEiEvS1_PKiPT2_llS2_IjLj3EEmmmmmmmmm.has_indirect_call, 0
	.section	.AMDGPU.csdata,"",@progbits
; Kernel info:
; codeLenInByte = 792
; TotalNumSgprs: 56
; NumVgprs: 18
; NumAgprs: 0
; TotalNumVgprs: 18
; ScratchSize: 0
; MemoryBound: 0
; FloatMode: 240
; IeeeMode: 1
; LDSByteSize: 0 bytes/workgroup (compile time only)
; SGPRBlocks: 6
; VGPRBlocks: 2
; NumSGPRsForWavesPerEU: 56
; NumVGPRsForWavesPerEU: 18
; AccumOffset: 20
; Occupancy: 8
; WaveLimiterHint : 1
; COMPUTE_PGM_RSRC2:SCRATCH_EN: 0
; COMPUTE_PGM_RSRC2:USER_SGPR: 2
; COMPUTE_PGM_RSRC2:TRAP_HANDLER: 0
; COMPUTE_PGM_RSRC2:TGID_X_EN: 1
; COMPUTE_PGM_RSRC2:TGID_Y_EN: 1
; COMPUTE_PGM_RSRC2:TGID_Z_EN: 1
; COMPUTE_PGM_RSRC2:TIDIG_COMP_CNT: 0
; COMPUTE_PGM_RSRC3_GFX90A:ACCUM_OFFSET: 4
; COMPUTE_PGM_RSRC3_GFX90A:TG_SPLIT: 0
	.section	.text._ZL10k_get_rowsILi32ELi1EXadL_ZL15dequantize_q8_0PKvliR15HIP_vector_typeIfLj2EEEEiEvS1_PKiPT2_llS2_IjLj3EEmmmmmmmmm,"axG",@progbits,_ZL10k_get_rowsILi32ELi1EXadL_ZL15dequantize_q8_0PKvliR15HIP_vector_typeIfLj2EEEEiEvS1_PKiPT2_llS2_IjLj3EEmmmmmmmmm,comdat
	.globl	_ZL10k_get_rowsILi32ELi1EXadL_ZL15dequantize_q8_0PKvliR15HIP_vector_typeIfLj2EEEEiEvS1_PKiPT2_llS2_IjLj3EEmmmmmmmmm ; -- Begin function _ZL10k_get_rowsILi32ELi1EXadL_ZL15dequantize_q8_0PKvliR15HIP_vector_typeIfLj2EEEEiEvS1_PKiPT2_llS2_IjLj3EEmmmmmmmmm
	.p2align	8
	.type	_ZL10k_get_rowsILi32ELi1EXadL_ZL15dequantize_q8_0PKvliR15HIP_vector_typeIfLj2EEEEiEvS1_PKiPT2_llS2_IjLj3EEmmmmmmmmm,@function
_ZL10k_get_rowsILi32ELi1EXadL_ZL15dequantize_q8_0PKvliR15HIP_vector_typeIfLj2EEEEiEvS1_PKiPT2_llS2_IjLj3EEmmmmmmmmm: ; @_ZL10k_get_rowsILi32ELi1EXadL_ZL15dequantize_q8_0PKvliR15HIP_vector_typeIfLj2EEEEiEvS1_PKiPT2_llS2_IjLj3EEmmmmmmmmm
; %bb.0:
	s_load_dwordx4 s[24:27], s[0:1], 0x18
	s_load_dwordx2 s[6:7], s[0:1], 0x2c
	s_mov_b32 s5, 0
	v_mov_b64_e32 v[2:3], s[4:5]
	s_waitcnt lgkmcnt(0)
	s_mul_i32 s8, s27, s7
	s_mul_hi_u32 s9, s26, s7
	s_add_i32 s39, s9, s8
	s_mul_i32 s38, s26, s7
	v_cmp_le_i64_e32 vcc, s[38:39], v[2:3]
	s_cbranch_vccnz .LBB19_6
; %bb.1:
	s_load_dwordx4 s[28:31], s[0:1], 0x0
	s_load_dwordx2 s[40:41], s[0:1], 0x10
	s_load_dwordx2 s[26:27], s[0:1], 0x78
	;; [unrolled: 1-line block ×3, first 2 shown]
	s_load_dword s33, s[0:1], 0x28
	s_load_dwordx16 s[8:23], s[0:1], 0x38
	s_add_u32 s36, s0, 0x80
	s_addc_u32 s37, s1, 0
	s_waitcnt lgkmcnt(0)
	s_and_b32 s35, s35, 0xffff
	s_mul_i32 s3, s3, s35
	v_add_lshl_u32 v0, s3, v0, 1
	s_ashr_i32 s3, s2, 31
	s_mul_hi_u32 s42, s20, s2
	s_mul_i32 s43, s20, s3
	s_add_i32 s42, s42, s43
	s_mul_i32 s21, s21, s2
	s_add_i32 s21, s42, s21
	s_mul_i32 s20, s20, s2
	s_lshl_b64 s[20:21], s[20:21], 2
	s_add_u32 s44, s30, s20
	s_mul_hi_u32 s20, s8, s2
	s_mul_i32 s3, s8, s3
	s_addc_u32 s45, s31, s21
	s_add_i32 s3, s20, s3
	s_mul_i32 s9, s9, s2
	s_add_i32 s3, s3, s9
	s_mul_i32 s2, s8, s2
	s_lshl_b64 s[2:3], s[2:3], 2
	v_mov_b32_e32 v1, 0
	s_add_u32 s46, s40, s2
	v_mov_b64_e32 v[2:3], v[0:1]
	v_cmp_gt_i64_e64 s[0:1], s[24:25], v[0:1]
	s_addc_u32 s47, s41, s3
	v_lshlrev_b64 v[4:5], 27, v[0:1]
	v_mov_b32_e32 v6, v1
	v_mov_b32_e32 v7, v0
	v_mov_b64_e32 v[8:9], s[38:39]
	s_mov_b64 s[2:3], s[4:5]
	s_branch .LBB19_3
.LBB19_2:                               ;   in Loop: Header=BB19_3 Depth=1
	s_or_b64 exec, exec, s[8:9]
	s_add_u32 s2, s2, s34
	s_addc_u32 s3, s3, 0
	v_cmp_ge_i64_e32 vcc, s[2:3], v[8:9]
	s_cbranch_vccnz .LBB19_6
.LBB19_3:                               ; =>This Loop Header: Depth=1
                                        ;     Child Loop BB19_5 Depth 2
	s_and_saveexec_b64 s[8:9], s[0:1]
	s_cbranch_execz .LBB19_2
; %bb.4:                                ;   in Loop: Header=BB19_3 Depth=1
	s_mul_hi_u32 s4, s2, s33
	s_add_i32 s4, s4, s2
	s_lshr_b32 s4, s4, s6
	s_mul_i32 s20, s4, s7
	s_sub_i32 s38, s2, s20
	s_ashr_i32 s39, s4, 31
	s_mul_i32 s20, s22, s39
	s_mul_hi_u32 s21, s22, s4
	s_ashr_i32 s40, s38, 31
	s_add_i32 s20, s21, s20
	s_mul_i32 s21, s23, s4
	s_mul_i32 s30, s26, s40
	s_mul_hi_u32 s31, s26, s38
	s_add_i32 s21, s20, s21
	s_mul_i32 s20, s22, s4
	s_add_i32 s30, s31, s30
	s_mul_i32 s31, s27, s38
	s_add_i32 s31, s30, s31
	s_lshl_b64 s[20:21], s[20:21], 2
	s_mul_i32 s30, s26, s38
	s_add_u32 s41, s44, s20
	s_addc_u32 s42, s45, s21
	s_lshl_b64 s[20:21], s[30:31], 2
	s_add_u32 s20, s41, s20
	s_addc_u32 s21, s42, s21
	s_load_dword s30, s[20:21], 0x0
	s_mul_i32 s20, s10, s39
	s_mul_hi_u32 s21, s10, s4
	s_add_i32 s20, s21, s20
	s_mul_i32 s21, s11, s4
	s_add_i32 s21, s20, s21
	s_mul_i32 s20, s10, s4
	s_waitcnt lgkmcnt(0)
	s_ashr_i32 s31, s30, 31
	s_lshl_b64 s[20:21], s[20:21], 2
	s_add_u32 s41, s46, s20
	s_addc_u32 s42, s47, s21
	s_mul_i32 s20, s12, s40
	s_mul_hi_u32 s21, s12, s38
	s_add_i32 s20, s21, s20
	s_mul_i32 s21, s13, s38
	s_add_i32 s21, s20, s21
	s_mul_i32 s20, s12, s38
	s_lshl_b64 s[20:21], s[20:21], 2
	s_add_u32 s20, s41, s20
	s_mul_i32 s31, s14, s31
	s_mul_hi_u32 s41, s14, s30
	s_addc_u32 s21, s42, s21
	s_add_i32 s31, s41, s31
	s_mul_i32 s41, s15, s30
	s_add_i32 s31, s31, s41
	s_mul_i32 s30, s14, s30
	s_add_u32 s30, s28, s30
	s_mul_i32 s39, s16, s39
	s_mul_hi_u32 s41, s16, s4
	s_addc_u32 s31, s29, s31
	s_add_i32 s39, s41, s39
	s_mul_i32 s41, s17, s4
	s_add_i32 s39, s39, s41
	s_mul_i32 s4, s16, s4
	s_add_u32 s4, s30, s4
	s_mul_i32 s30, s18, s40
	s_load_dword s40, s[36:37], 0x4
	s_addc_u32 s31, s31, s39
	s_mul_hi_u32 s39, s18, s38
	s_add_i32 s30, s39, s30
	s_mul_i32 s39, s19, s38
	s_add_i32 s39, s30, s39
	s_mul_i32 s30, s18, s38
	s_add_u32 s30, s4, s30
	s_waitcnt lgkmcnt(0)
	s_mul_i32 s4, s40, s35
	s_addc_u32 s31, s31, s39
	s_lshl_b64 s[38:39], s[4:5], 27
	s_mov_b32 s40, s5
	s_mov_b32 s41, s4
	s_mov_b64 s[42:43], 0
	v_mov_b64_e32 v[10:11], v[6:7]
	v_mov_b64_e32 v[12:13], v[4:5]
	;; [unrolled: 1-line block ×3, first 2 shown]
.LBB19_5:                               ;   Parent Loop BB19_3 Depth=1
                                        ; =>  This Inner Loop Header: Depth=2
	v_mad_i64_i32 v[16:17], s[48:49], v13, 34, s[30:31]
	v_and_b32_e32 v0, 31, v14
	v_lshl_add_u64 v[18:19], v[16:17], 0, v[0:1]
	global_load_ushort v0, v[16:17], off
	global_load_ushort v20, v[18:19], off offset:2
	v_lshl_add_u64 v[14:15], v[14:15], 0, s[4:5]
	v_ashrrev_i64 v[16:17], 30, v[10:11]
	v_cmp_le_i64_e32 vcc, s[24:25], v[14:15]
	v_lshl_add_u64 v[12:13], v[12:13], 0, s[38:39]
	v_lshl_add_u64 v[10:11], v[10:11], 0, s[40:41]
	;; [unrolled: 1-line block ×3, first 2 shown]
	s_or_b64 s[42:43], vcc, s[42:43]
	s_waitcnt vmcnt(1)
	v_cvt_f32_f16_e32 v0, v0
	s_waitcnt vmcnt(0)
	v_bfe_i32 v18, v20, 0, 8
	v_ashrrev_i16_e32 v19, 8, v20
	v_cvt_f32_i32_sdwa v19, sext(v19) dst_sel:DWORD dst_unused:UNUSED_PAD src0_sel:WORD_0
	v_cvt_f32_i32_sdwa v18, sext(v18) dst_sel:DWORD dst_unused:UNUSED_PAD src0_sel:WORD_0
	v_pk_mul_f32 v[18:19], v[0:1], v[18:19] op_sel_hi:[0,1]
	v_cvt_i32_f32_e32 v19, v19
	v_cvt_i32_f32_e32 v18, v18
	global_store_dwordx2 v[16:17], v[18:19], off
	s_andn2_b64 exec, exec, s[42:43]
	s_cbranch_execnz .LBB19_5
	s_branch .LBB19_2
.LBB19_6:
	s_endpgm
	.section	.rodata,"a",@progbits
	.p2align	6, 0x0
	.amdhsa_kernel _ZL10k_get_rowsILi32ELi1EXadL_ZL15dequantize_q8_0PKvliR15HIP_vector_typeIfLj2EEEEiEvS1_PKiPT2_llS2_IjLj3EEmmmmmmmmm
		.amdhsa_group_segment_fixed_size 0
		.amdhsa_private_segment_fixed_size 0
		.amdhsa_kernarg_size 384
		.amdhsa_user_sgpr_count 2
		.amdhsa_user_sgpr_dispatch_ptr 0
		.amdhsa_user_sgpr_queue_ptr 0
		.amdhsa_user_sgpr_kernarg_segment_ptr 1
		.amdhsa_user_sgpr_dispatch_id 0
		.amdhsa_user_sgpr_kernarg_preload_length 0
		.amdhsa_user_sgpr_kernarg_preload_offset 0
		.amdhsa_user_sgpr_private_segment_size 0
		.amdhsa_uses_dynamic_stack 0
		.amdhsa_enable_private_segment 0
		.amdhsa_system_sgpr_workgroup_id_x 1
		.amdhsa_system_sgpr_workgroup_id_y 1
		.amdhsa_system_sgpr_workgroup_id_z 1
		.amdhsa_system_sgpr_workgroup_info 0
		.amdhsa_system_vgpr_workitem_id 0
		.amdhsa_next_free_vgpr 21
		.amdhsa_next_free_sgpr 50
		.amdhsa_accum_offset 24
		.amdhsa_reserve_vcc 1
		.amdhsa_float_round_mode_32 0
		.amdhsa_float_round_mode_16_64 0
		.amdhsa_float_denorm_mode_32 3
		.amdhsa_float_denorm_mode_16_64 3
		.amdhsa_dx10_clamp 1
		.amdhsa_ieee_mode 1
		.amdhsa_fp16_overflow 0
		.amdhsa_tg_split 0
		.amdhsa_exception_fp_ieee_invalid_op 0
		.amdhsa_exception_fp_denorm_src 0
		.amdhsa_exception_fp_ieee_div_zero 0
		.amdhsa_exception_fp_ieee_overflow 0
		.amdhsa_exception_fp_ieee_underflow 0
		.amdhsa_exception_fp_ieee_inexact 0
		.amdhsa_exception_int_div_zero 0
	.end_amdhsa_kernel
	.section	.text._ZL10k_get_rowsILi32ELi1EXadL_ZL15dequantize_q8_0PKvliR15HIP_vector_typeIfLj2EEEEiEvS1_PKiPT2_llS2_IjLj3EEmmmmmmmmm,"axG",@progbits,_ZL10k_get_rowsILi32ELi1EXadL_ZL15dequantize_q8_0PKvliR15HIP_vector_typeIfLj2EEEEiEvS1_PKiPT2_llS2_IjLj3EEmmmmmmmmm,comdat
.Lfunc_end19:
	.size	_ZL10k_get_rowsILi32ELi1EXadL_ZL15dequantize_q8_0PKvliR15HIP_vector_typeIfLj2EEEEiEvS1_PKiPT2_llS2_IjLj3EEmmmmmmmmm, .Lfunc_end19-_ZL10k_get_rowsILi32ELi1EXadL_ZL15dequantize_q8_0PKvliR15HIP_vector_typeIfLj2EEEEiEvS1_PKiPT2_llS2_IjLj3EEmmmmmmmmm
                                        ; -- End function
	.set _ZL10k_get_rowsILi32ELi1EXadL_ZL15dequantize_q8_0PKvliR15HIP_vector_typeIfLj2EEEEiEvS1_PKiPT2_llS2_IjLj3EEmmmmmmmmm.num_vgpr, 21
	.set _ZL10k_get_rowsILi32ELi1EXadL_ZL15dequantize_q8_0PKvliR15HIP_vector_typeIfLj2EEEEiEvS1_PKiPT2_llS2_IjLj3EEmmmmmmmmm.num_agpr, 0
	.set _ZL10k_get_rowsILi32ELi1EXadL_ZL15dequantize_q8_0PKvliR15HIP_vector_typeIfLj2EEEEiEvS1_PKiPT2_llS2_IjLj3EEmmmmmmmmm.numbered_sgpr, 50
	.set _ZL10k_get_rowsILi32ELi1EXadL_ZL15dequantize_q8_0PKvliR15HIP_vector_typeIfLj2EEEEiEvS1_PKiPT2_llS2_IjLj3EEmmmmmmmmm.num_named_barrier, 0
	.set _ZL10k_get_rowsILi32ELi1EXadL_ZL15dequantize_q8_0PKvliR15HIP_vector_typeIfLj2EEEEiEvS1_PKiPT2_llS2_IjLj3EEmmmmmmmmm.private_seg_size, 0
	.set _ZL10k_get_rowsILi32ELi1EXadL_ZL15dequantize_q8_0PKvliR15HIP_vector_typeIfLj2EEEEiEvS1_PKiPT2_llS2_IjLj3EEmmmmmmmmm.uses_vcc, 1
	.set _ZL10k_get_rowsILi32ELi1EXadL_ZL15dequantize_q8_0PKvliR15HIP_vector_typeIfLj2EEEEiEvS1_PKiPT2_llS2_IjLj3EEmmmmmmmmm.uses_flat_scratch, 0
	.set _ZL10k_get_rowsILi32ELi1EXadL_ZL15dequantize_q8_0PKvliR15HIP_vector_typeIfLj2EEEEiEvS1_PKiPT2_llS2_IjLj3EEmmmmmmmmm.has_dyn_sized_stack, 0
	.set _ZL10k_get_rowsILi32ELi1EXadL_ZL15dequantize_q8_0PKvliR15HIP_vector_typeIfLj2EEEEiEvS1_PKiPT2_llS2_IjLj3EEmmmmmmmmm.has_recursion, 0
	.set _ZL10k_get_rowsILi32ELi1EXadL_ZL15dequantize_q8_0PKvliR15HIP_vector_typeIfLj2EEEEiEvS1_PKiPT2_llS2_IjLj3EEmmmmmmmmm.has_indirect_call, 0
	.section	.AMDGPU.csdata,"",@progbits
; Kernel info:
; codeLenInByte = 776
; TotalNumSgprs: 56
; NumVgprs: 21
; NumAgprs: 0
; TotalNumVgprs: 21
; ScratchSize: 0
; MemoryBound: 0
; FloatMode: 240
; IeeeMode: 1
; LDSByteSize: 0 bytes/workgroup (compile time only)
; SGPRBlocks: 6
; VGPRBlocks: 2
; NumSGPRsForWavesPerEU: 56
; NumVGPRsForWavesPerEU: 21
; AccumOffset: 24
; Occupancy: 8
; WaveLimiterHint : 1
; COMPUTE_PGM_RSRC2:SCRATCH_EN: 0
; COMPUTE_PGM_RSRC2:USER_SGPR: 2
; COMPUTE_PGM_RSRC2:TRAP_HANDLER: 0
; COMPUTE_PGM_RSRC2:TGID_X_EN: 1
; COMPUTE_PGM_RSRC2:TGID_Y_EN: 1
; COMPUTE_PGM_RSRC2:TGID_Z_EN: 1
; COMPUTE_PGM_RSRC2:TIDIG_COMP_CNT: 0
; COMPUTE_PGM_RSRC3_GFX90A:ACCUM_OFFSET: 5
; COMPUTE_PGM_RSRC3_GFX90A:TG_SPLIT: 0
	.section	.text._ZL16k_get_rows_floatI6__halfS0_EvPKT_PKiPT0_ll15HIP_vector_typeIjLj3EEmmmmmmmmm,"axG",@progbits,_ZL16k_get_rows_floatI6__halfS0_EvPKT_PKiPT0_ll15HIP_vector_typeIjLj3EEmmmmmmmmm,comdat
	.globl	_ZL16k_get_rows_floatI6__halfS0_EvPKT_PKiPT0_ll15HIP_vector_typeIjLj3EEmmmmmmmmm ; -- Begin function _ZL16k_get_rows_floatI6__halfS0_EvPKT_PKiPT0_ll15HIP_vector_typeIjLj3EEmmmmmmmmm
	.p2align	8
	.type	_ZL16k_get_rows_floatI6__halfS0_EvPKT_PKiPT0_ll15HIP_vector_typeIjLj3EEmmmmmmmmm,@function
_ZL16k_get_rows_floatI6__halfS0_EvPKT_PKiPT0_ll15HIP_vector_typeIjLj3EEmmmmmmmmm: ; @_ZL16k_get_rows_floatI6__halfS0_EvPKT_PKiPT0_ll15HIP_vector_typeIjLj3EEmmmmmmmmm
; %bb.0:
	s_load_dwordx2 s[8:9], s[0:1], 0x20
	s_load_dwordx2 s[6:7], s[0:1], 0x2c
	s_mov_b32 s5, 0
	v_mov_b64_e32 v[2:3], s[4:5]
	s_waitcnt lgkmcnt(0)
	s_mul_i32 s9, s9, s7
	s_mul_hi_u32 s10, s8, s7
	s_add_i32 s41, s10, s9
	s_mul_i32 s40, s8, s7
	v_cmp_le_i64_e32 vcc, s[40:41], v[2:3]
	s_cbranch_vccnz .LBB20_6
; %bb.1:
	s_load_dwordx8 s[24:31], s[0:1], 0x0
	s_load_dwordx2 s[34:35], s[0:1], 0x78
	s_load_dwordx2 s[36:37], s[0:1], 0x88
	s_load_dword s33, s[0:1], 0x28
	s_load_dwordx16 s[8:23], s[0:1], 0x38
	s_add_u32 s38, s0, 0x80
	s_addc_u32 s39, s1, 0
	s_waitcnt lgkmcnt(0)
	s_and_b32 s37, s37, 0xffff
	s_mul_i32 s3, s3, s37
	v_add_u32_e32 v0, s3, v0
	s_ashr_i32 s3, s2, 31
	s_mul_hi_u32 s42, s20, s2
	s_mul_i32 s43, s20, s3
	s_add_i32 s42, s42, s43
	s_mul_i32 s21, s21, s2
	s_add_i32 s21, s42, s21
	s_mul_i32 s20, s20, s2
	s_lshl_b64 s[20:21], s[20:21], 2
	s_add_u32 s42, s26, s20
	s_mul_hi_u32 s20, s8, s2
	s_mul_i32 s3, s8, s3
	s_addc_u32 s43, s27, s21
	s_add_i32 s3, s20, s3
	s_mul_i32 s9, s9, s2
	s_add_i32 s3, s3, s9
	s_mul_i32 s2, s8, s2
	s_lshl_b64 s[2:3], s[2:3], 1
	v_mov_b32_e32 v1, 0
	s_add_u32 s2, s28, s2
	v_lshlrev_b64 v[4:5], 1, v[0:1]
	s_addc_u32 s3, s29, s3
	v_cmp_gt_i64_e64 s[0:1], s[30:31], v[0:1]
	v_lshl_add_u64 v[2:3], s[2:3], 0, v[4:5]
	s_lshl_b64 s[2:3], s[10:11], 1
	s_lshl_b64 s[8:9], s[12:13], 1
	v_lshl_add_u64 v[4:5], s[24:25], 0, v[4:5]
	v_mov_b64_e32 v[6:7], s[40:41]
	s_mov_b64 s[10:11], s[4:5]
	s_branch .LBB20_3
.LBB20_2:                               ;   in Loop: Header=BB20_3 Depth=1
	s_or_b64 exec, exec, s[12:13]
	s_add_u32 s10, s10, s36
	s_addc_u32 s11, s11, 0
	v_cmp_lt_i64_e32 vcc, s[10:11], v[6:7]
	s_cbranch_vccz .LBB20_6
.LBB20_3:                               ; =>This Loop Header: Depth=1
                                        ;     Child Loop BB20_5 Depth 2
	s_and_saveexec_b64 s[12:13], s[0:1]
	s_cbranch_execz .LBB20_2
; %bb.4:                                ;   in Loop: Header=BB20_3 Depth=1
	s_mul_hi_u32 s4, s10, s33
	s_add_i32 s4, s4, s10
	s_lshr_b32 s26, s4, s6
	s_mul_i32 s4, s26, s7
	s_ashr_i32 s28, s26, 31
	s_sub_i32 s27, s10, s4
	s_mul_i32 s4, s22, s28
	s_mul_hi_u32 s20, s22, s26
	s_add_i32 s4, s20, s4
	s_mul_i32 s20, s23, s26
	s_ashr_i32 s29, s27, 31
	s_add_i32 s21, s4, s20
	s_mul_i32 s4, s34, s29
	s_mul_hi_u32 s24, s34, s27
	s_mul_i32 s20, s22, s26
	s_add_i32 s4, s24, s4
	s_mul_i32 s24, s35, s27
	s_add_i32 s25, s4, s24
	s_lshl_b64 s[20:21], s[20:21], 2
	s_mul_i32 s24, s34, s27
	s_add_u32 s4, s42, s20
	s_addc_u32 s40, s43, s21
	s_lshl_b64 s[20:21], s[24:25], 2
	s_load_dword s25, s[38:39], 0x4
	s_add_u32 s20, s4, s20
	s_mul_i32 s4, s16, s28
	s_mul_hi_u32 s24, s16, s26
	s_addc_u32 s21, s40, s21
	s_add_i32 s4, s24, s4
	s_mul_i32 s24, s17, s26
	s_add_i32 s40, s4, s24
	s_waitcnt lgkmcnt(0)
	s_mul_i32 s4, s25, s37
	s_mul_i32 s24, s2, s28
	s_mul_hi_u32 s25, s2, s26
	s_add_i32 s24, s25, s24
	s_mul_i32 s25, s3, s26
	s_mul_i32 s41, s16, s26
	s_add_i32 s25, s24, s25
	s_mul_i32 s24, s2, s26
	s_mul_i32 s26, s8, s29
	s_mul_hi_u32 s28, s8, s27
	s_add_i32 s26, s28, s26
	s_mul_i32 s28, s9, s27
	s_add_i32 s26, s26, s28
	s_mul_i32 s28, s8, s27
	s_add_u32 s24, s24, s28
	s_addc_u32 s25, s25, s26
	s_mul_i32 s26, s18, s29
	s_mul_hi_u32 s28, s18, s27
	s_add_i32 s26, s28, s26
	s_mul_i32 s28, s19, s27
	v_lshl_add_u64 v[8:9], v[2:3], 0, s[24:25]
	s_lshl_b64 s[24:25], s[4:5], 1
	s_add_i32 s28, s26, s28
	s_mul_i32 s26, s18, s27
	s_add_u32 s26, s41, s26
	s_addc_u32 s27, s40, s28
	v_lshl_add_u64 v[10:11], v[4:5], 0, s[26:27]
	s_mov_b64 s[26:27], 0
	s_mov_b64 s[28:29], 0
	v_mov_b64_e32 v[12:13], v[0:1]
.LBB20_5:                               ;   Parent Loop BB20_3 Depth=1
                                        ; =>  This Inner Loop Header: Depth=2
	global_load_dword v14, v1, s[20:21]
	v_lshl_add_u64 v[12:13], v[12:13], 0, s[4:5]
	v_cmp_le_i64_e32 vcc, s[30:31], v[12:13]
	s_waitcnt vmcnt(0)
	v_ashrrev_i32_e32 v15, 31, v14
	v_mul_hi_u32 v16, s14, v14
	v_mul_lo_u32 v15, s14, v15
	v_mul_lo_u32 v17, s15, v14
	v_add_u32_e32 v15, v16, v15
	v_mul_lo_u32 v14, s14, v14
	v_add_u32_e32 v15, v15, v17
	v_lshl_add_u64 v[14:15], s[28:29], 0, v[14:15]
	v_lshl_add_u64 v[14:15], v[10:11], 0, v[14:15]
	global_load_ushort v16, v[14:15], off
	v_lshl_add_u64 v[14:15], v[8:9], 0, s[28:29]
	s_add_u32 s28, s28, s24
	s_addc_u32 s29, s29, s25
	s_or_b64 s[26:27], vcc, s[26:27]
	s_waitcnt vmcnt(0)
	global_store_short v[14:15], v16, off
	s_andn2_b64 exec, exec, s[26:27]
	s_cbranch_execnz .LBB20_5
	s_branch .LBB20_2
.LBB20_6:
	s_endpgm
	.section	.rodata,"a",@progbits
	.p2align	6, 0x0
	.amdhsa_kernel _ZL16k_get_rows_floatI6__halfS0_EvPKT_PKiPT0_ll15HIP_vector_typeIjLj3EEmmmmmmmmm
		.amdhsa_group_segment_fixed_size 0
		.amdhsa_private_segment_fixed_size 0
		.amdhsa_kernarg_size 384
		.amdhsa_user_sgpr_count 2
		.amdhsa_user_sgpr_dispatch_ptr 0
		.amdhsa_user_sgpr_queue_ptr 0
		.amdhsa_user_sgpr_kernarg_segment_ptr 1
		.amdhsa_user_sgpr_dispatch_id 0
		.amdhsa_user_sgpr_kernarg_preload_length 0
		.amdhsa_user_sgpr_kernarg_preload_offset 0
		.amdhsa_user_sgpr_private_segment_size 0
		.amdhsa_uses_dynamic_stack 0
		.amdhsa_enable_private_segment 0
		.amdhsa_system_sgpr_workgroup_id_x 1
		.amdhsa_system_sgpr_workgroup_id_y 1
		.amdhsa_system_sgpr_workgroup_id_z 1
		.amdhsa_system_sgpr_workgroup_info 0
		.amdhsa_system_vgpr_workitem_id 0
		.amdhsa_next_free_vgpr 18
		.amdhsa_next_free_sgpr 44
		.amdhsa_accum_offset 20
		.amdhsa_reserve_vcc 1
		.amdhsa_float_round_mode_32 0
		.amdhsa_float_round_mode_16_64 0
		.amdhsa_float_denorm_mode_32 3
		.amdhsa_float_denorm_mode_16_64 3
		.amdhsa_dx10_clamp 1
		.amdhsa_ieee_mode 1
		.amdhsa_fp16_overflow 0
		.amdhsa_tg_split 0
		.amdhsa_exception_fp_ieee_invalid_op 0
		.amdhsa_exception_fp_denorm_src 0
		.amdhsa_exception_fp_ieee_div_zero 0
		.amdhsa_exception_fp_ieee_overflow 0
		.amdhsa_exception_fp_ieee_underflow 0
		.amdhsa_exception_fp_ieee_inexact 0
		.amdhsa_exception_int_div_zero 0
	.end_amdhsa_kernel
	.section	.text._ZL16k_get_rows_floatI6__halfS0_EvPKT_PKiPT0_ll15HIP_vector_typeIjLj3EEmmmmmmmmm,"axG",@progbits,_ZL16k_get_rows_floatI6__halfS0_EvPKT_PKiPT0_ll15HIP_vector_typeIjLj3EEmmmmmmmmm,comdat
.Lfunc_end20:
	.size	_ZL16k_get_rows_floatI6__halfS0_EvPKT_PKiPT0_ll15HIP_vector_typeIjLj3EEmmmmmmmmm, .Lfunc_end20-_ZL16k_get_rows_floatI6__halfS0_EvPKT_PKiPT0_ll15HIP_vector_typeIjLj3EEmmmmmmmmm
                                        ; -- End function
	.set _ZL16k_get_rows_floatI6__halfS0_EvPKT_PKiPT0_ll15HIP_vector_typeIjLj3EEmmmmmmmmm.num_vgpr, 18
	.set _ZL16k_get_rows_floatI6__halfS0_EvPKT_PKiPT0_ll15HIP_vector_typeIjLj3EEmmmmmmmmm.num_agpr, 0
	.set _ZL16k_get_rows_floatI6__halfS0_EvPKT_PKiPT0_ll15HIP_vector_typeIjLj3EEmmmmmmmmm.numbered_sgpr, 44
	.set _ZL16k_get_rows_floatI6__halfS0_EvPKT_PKiPT0_ll15HIP_vector_typeIjLj3EEmmmmmmmmm.num_named_barrier, 0
	.set _ZL16k_get_rows_floatI6__halfS0_EvPKT_PKiPT0_ll15HIP_vector_typeIjLj3EEmmmmmmmmm.private_seg_size, 0
	.set _ZL16k_get_rows_floatI6__halfS0_EvPKT_PKiPT0_ll15HIP_vector_typeIjLj3EEmmmmmmmmm.uses_vcc, 1
	.set _ZL16k_get_rows_floatI6__halfS0_EvPKT_PKiPT0_ll15HIP_vector_typeIjLj3EEmmmmmmmmm.uses_flat_scratch, 0
	.set _ZL16k_get_rows_floatI6__halfS0_EvPKT_PKiPT0_ll15HIP_vector_typeIjLj3EEmmmmmmmmm.has_dyn_sized_stack, 0
	.set _ZL16k_get_rows_floatI6__halfS0_EvPKT_PKiPT0_ll15HIP_vector_typeIjLj3EEmmmmmmmmm.has_recursion, 0
	.set _ZL16k_get_rows_floatI6__halfS0_EvPKT_PKiPT0_ll15HIP_vector_typeIjLj3EEmmmmmmmmm.has_indirect_call, 0
	.section	.AMDGPU.csdata,"",@progbits
; Kernel info:
; codeLenInByte = 684
; TotalNumSgprs: 50
; NumVgprs: 18
; NumAgprs: 0
; TotalNumVgprs: 18
; ScratchSize: 0
; MemoryBound: 0
; FloatMode: 240
; IeeeMode: 1
; LDSByteSize: 0 bytes/workgroup (compile time only)
; SGPRBlocks: 6
; VGPRBlocks: 2
; NumSGPRsForWavesPerEU: 50
; NumVGPRsForWavesPerEU: 18
; AccumOffset: 20
; Occupancy: 8
; WaveLimiterHint : 1
; COMPUTE_PGM_RSRC2:SCRATCH_EN: 0
; COMPUTE_PGM_RSRC2:USER_SGPR: 2
; COMPUTE_PGM_RSRC2:TRAP_HANDLER: 0
; COMPUTE_PGM_RSRC2:TGID_X_EN: 1
; COMPUTE_PGM_RSRC2:TGID_Y_EN: 1
; COMPUTE_PGM_RSRC2:TGID_Z_EN: 1
; COMPUTE_PGM_RSRC2:TIDIG_COMP_CNT: 0
; COMPUTE_PGM_RSRC3_GFX90A:ACCUM_OFFSET: 4
; COMPUTE_PGM_RSRC3_GFX90A:TG_SPLIT: 0
	.section	.text._ZL16k_get_rows_floatIf6__halfEvPKT_PKiPT0_ll15HIP_vector_typeIjLj3EEmmmmmmmmm,"axG",@progbits,_ZL16k_get_rows_floatIf6__halfEvPKT_PKiPT0_ll15HIP_vector_typeIjLj3EEmmmmmmmmm,comdat
	.globl	_ZL16k_get_rows_floatIf6__halfEvPKT_PKiPT0_ll15HIP_vector_typeIjLj3EEmmmmmmmmm ; -- Begin function _ZL16k_get_rows_floatIf6__halfEvPKT_PKiPT0_ll15HIP_vector_typeIjLj3EEmmmmmmmmm
	.p2align	8
	.type	_ZL16k_get_rows_floatIf6__halfEvPKT_PKiPT0_ll15HIP_vector_typeIjLj3EEmmmmmmmmm,@function
_ZL16k_get_rows_floatIf6__halfEvPKT_PKiPT0_ll15HIP_vector_typeIjLj3EEmmmmmmmmm: ; @_ZL16k_get_rows_floatIf6__halfEvPKT_PKiPT0_ll15HIP_vector_typeIjLj3EEmmmmmmmmm
; %bb.0:
	s_load_dwordx2 s[8:9], s[0:1], 0x20
	s_load_dwordx2 s[6:7], s[0:1], 0x2c
	s_mov_b32 s5, 0
	v_mov_b64_e32 v[2:3], s[4:5]
	s_waitcnt lgkmcnt(0)
	s_mul_i32 s9, s9, s7
	s_mul_hi_u32 s10, s8, s7
	s_add_i32 s39, s10, s9
	s_mul_i32 s38, s8, s7
	v_cmp_le_i64_e32 vcc, s[38:39], v[2:3]
	s_cbranch_vccnz .LBB21_6
; %bb.1:
	s_load_dwordx8 s[24:31], s[0:1], 0x0
	s_load_dword s33, s[0:1], 0x28
	s_load_dwordx2 s[34:35], s[0:1], 0x78
	s_load_dwordx2 s[36:37], s[0:1], 0x88
	s_load_dwordx16 s[8:23], s[0:1], 0x38
	s_waitcnt lgkmcnt(0)
	v_mov_b32_e32 v4, s24
	s_add_u32 s24, s0, 0x80
	v_mov_b32_e32 v5, s25
	s_addc_u32 s25, s1, 0
	s_and_b32 s37, s37, 0xffff
	s_mul_i32 s3, s3, s37
	v_add_u32_e32 v0, s3, v0
	s_ashr_i32 s3, s2, 31
	s_mul_hi_u32 s40, s20, s2
	s_mul_i32 s41, s20, s3
	s_add_i32 s40, s40, s41
	s_mul_i32 s21, s21, s2
	s_add_i32 s21, s40, s21
	s_mul_i32 s20, s20, s2
	s_lshl_b64 s[20:21], s[20:21], 2
	s_add_u32 s40, s26, s20
	s_mul_hi_u32 s20, s8, s2
	s_mul_i32 s3, s8, s3
	s_addc_u32 s41, s27, s21
	s_add_i32 s3, s20, s3
	s_mul_i32 s9, s9, s2
	s_add_i32 s3, s3, s9
	s_mul_i32 s2, s8, s2
	s_lshl_b64 s[2:3], s[2:3], 1
	s_add_u32 s2, s28, s2
	v_mov_b32_e32 v1, 0
	s_addc_u32 s3, s29, s3
	v_cmp_gt_i64_e64 s[0:1], s[30:31], v[0:1]
	v_lshl_add_u64 v[2:3], v[0:1], 1, s[2:3]
	s_lshl_b64 s[2:3], s[10:11], 1
	s_lshl_b64 s[8:9], s[12:13], 1
	v_lshl_add_u64 v[4:5], v[0:1], 2, v[4:5]
	v_mov_b64_e32 v[6:7], s[38:39]
	s_mov_b64 s[10:11], s[4:5]
	s_branch .LBB21_3
.LBB21_2:                               ;   in Loop: Header=BB21_3 Depth=1
	s_or_b64 exec, exec, s[12:13]
	s_add_u32 s10, s10, s36
	s_addc_u32 s11, s11, 0
	v_cmp_lt_i64_e32 vcc, s[10:11], v[6:7]
	s_cbranch_vccz .LBB21_6
.LBB21_3:                               ; =>This Loop Header: Depth=1
                                        ;     Child Loop BB21_5 Depth 2
	s_and_saveexec_b64 s[12:13], s[0:1]
	s_cbranch_execz .LBB21_2
; %bb.4:                                ;   in Loop: Header=BB21_3 Depth=1
	s_mul_hi_u32 s4, s10, s33
	s_add_i32 s4, s4, s10
	s_lshr_b32 s28, s4, s6
	s_mul_i32 s4, s28, s7
	s_ashr_i32 s38, s28, 31
	s_sub_i32 s29, s10, s4
	s_mul_i32 s4, s22, s38
	s_mul_hi_u32 s20, s22, s28
	s_add_i32 s4, s20, s4
	s_mul_i32 s20, s23, s28
	s_ashr_i32 s39, s29, 31
	s_add_i32 s21, s4, s20
	s_mul_i32 s4, s34, s39
	s_mul_hi_u32 s26, s34, s29
	s_mul_i32 s20, s22, s28
	s_add_i32 s4, s26, s4
	s_mul_i32 s26, s35, s29
	s_add_i32 s27, s4, s26
	s_lshl_b64 s[20:21], s[20:21], 2
	s_mul_i32 s26, s34, s29
	s_add_u32 s4, s40, s20
	s_addc_u32 s42, s41, s21
	s_lshl_b64 s[20:21], s[26:27], 2
	s_load_dword s27, s[24:25], 0x4
	s_add_u32 s20, s4, s20
	s_mul_i32 s4, s16, s38
	s_mul_hi_u32 s26, s16, s28
	s_addc_u32 s21, s42, s21
	s_add_i32 s4, s26, s4
	s_mul_i32 s26, s17, s28
	s_add_i32 s42, s4, s26
	s_waitcnt lgkmcnt(0)
	s_mul_i32 s4, s27, s37
	s_mul_i32 s26, s2, s38
	s_mul_hi_u32 s27, s2, s28
	s_add_i32 s26, s27, s26
	s_mul_i32 s27, s3, s28
	s_mul_i32 s43, s16, s28
	s_add_i32 s27, s26, s27
	s_mul_i32 s26, s2, s28
	s_mul_i32 s28, s8, s39
	s_mul_hi_u32 s38, s8, s29
	s_add_i32 s28, s38, s28
	s_mul_i32 s38, s9, s29
	s_add_i32 s28, s28, s38
	s_mul_i32 s38, s8, s29
	s_add_u32 s26, s26, s38
	s_addc_u32 s27, s27, s28
	s_mul_i32 s28, s18, s39
	s_mul_hi_u32 s38, s18, s29
	s_add_i32 s28, s38, s28
	s_mul_i32 s38, s19, s29
	v_lshl_add_u64 v[8:9], v[2:3], 0, s[26:27]
	s_lshl_b64 s[26:27], s[4:5], 1
	s_add_i32 s38, s28, s38
	s_mul_i32 s28, s18, s29
	s_add_u32 s28, s43, s28
	s_addc_u32 s29, s42, s38
	v_lshl_add_u64 v[10:11], v[4:5], 0, s[28:29]
	s_lshl_b64 s[28:29], s[4:5], 2
	s_mov_b64 s[38:39], 0
	v_mov_b64_e32 v[12:13], v[0:1]
.LBB21_5:                               ;   Parent Loop BB21_3 Depth=1
                                        ; =>  This Inner Loop Header: Depth=2
	global_load_dword v14, v1, s[20:21]
	v_lshl_add_u64 v[12:13], v[12:13], 0, s[4:5]
	v_cmp_le_i64_e32 vcc, s[30:31], v[12:13]
	s_or_b64 s[38:39], vcc, s[38:39]
	s_waitcnt vmcnt(0)
	v_ashrrev_i32_e32 v16, 31, v14
	v_mul_lo_u32 v17, s15, v14
	v_mul_lo_u32 v16, s14, v16
	v_mad_u64_u32 v[14:15], s[42:43], s14, v14, v[10:11]
	v_add_u32_e32 v16, v16, v17
	v_add_u32_e32 v15, v16, v15
	global_load_dword v14, v[14:15], off
	v_lshl_add_u64 v[10:11], v[10:11], 0, s[28:29]
	s_waitcnt vmcnt(0)
	v_cvt_f16_f32_e32 v14, v14
	global_store_short v[8:9], v14, off
	v_lshl_add_u64 v[8:9], v[8:9], 0, s[26:27]
	s_andn2_b64 exec, exec, s[38:39]
	s_cbranch_execnz .LBB21_5
	s_branch .LBB21_2
.LBB21_6:
	s_endpgm
	.section	.rodata,"a",@progbits
	.p2align	6, 0x0
	.amdhsa_kernel _ZL16k_get_rows_floatIf6__halfEvPKT_PKiPT0_ll15HIP_vector_typeIjLj3EEmmmmmmmmm
		.amdhsa_group_segment_fixed_size 0
		.amdhsa_private_segment_fixed_size 0
		.amdhsa_kernarg_size 384
		.amdhsa_user_sgpr_count 2
		.amdhsa_user_sgpr_dispatch_ptr 0
		.amdhsa_user_sgpr_queue_ptr 0
		.amdhsa_user_sgpr_kernarg_segment_ptr 1
		.amdhsa_user_sgpr_dispatch_id 0
		.amdhsa_user_sgpr_kernarg_preload_length 0
		.amdhsa_user_sgpr_kernarg_preload_offset 0
		.amdhsa_user_sgpr_private_segment_size 0
		.amdhsa_uses_dynamic_stack 0
		.amdhsa_enable_private_segment 0
		.amdhsa_system_sgpr_workgroup_id_x 1
		.amdhsa_system_sgpr_workgroup_id_y 1
		.amdhsa_system_sgpr_workgroup_id_z 1
		.amdhsa_system_sgpr_workgroup_info 0
		.amdhsa_system_vgpr_workitem_id 0
		.amdhsa_next_free_vgpr 18
		.amdhsa_next_free_sgpr 44
		.amdhsa_accum_offset 20
		.amdhsa_reserve_vcc 1
		.amdhsa_float_round_mode_32 0
		.amdhsa_float_round_mode_16_64 0
		.amdhsa_float_denorm_mode_32 3
		.amdhsa_float_denorm_mode_16_64 3
		.amdhsa_dx10_clamp 1
		.amdhsa_ieee_mode 1
		.amdhsa_fp16_overflow 0
		.amdhsa_tg_split 0
		.amdhsa_exception_fp_ieee_invalid_op 0
		.amdhsa_exception_fp_denorm_src 0
		.amdhsa_exception_fp_ieee_div_zero 0
		.amdhsa_exception_fp_ieee_overflow 0
		.amdhsa_exception_fp_ieee_underflow 0
		.amdhsa_exception_fp_ieee_inexact 0
		.amdhsa_exception_int_div_zero 0
	.end_amdhsa_kernel
	.section	.text._ZL16k_get_rows_floatIf6__halfEvPKT_PKiPT0_ll15HIP_vector_typeIjLj3EEmmmmmmmmm,"axG",@progbits,_ZL16k_get_rows_floatIf6__halfEvPKT_PKiPT0_ll15HIP_vector_typeIjLj3EEmmmmmmmmm,comdat
.Lfunc_end21:
	.size	_ZL16k_get_rows_floatIf6__halfEvPKT_PKiPT0_ll15HIP_vector_typeIjLj3EEmmmmmmmmm, .Lfunc_end21-_ZL16k_get_rows_floatIf6__halfEvPKT_PKiPT0_ll15HIP_vector_typeIjLj3EEmmmmmmmmm
                                        ; -- End function
	.set _ZL16k_get_rows_floatIf6__halfEvPKT_PKiPT0_ll15HIP_vector_typeIjLj3EEmmmmmmmmm.num_vgpr, 18
	.set _ZL16k_get_rows_floatIf6__halfEvPKT_PKiPT0_ll15HIP_vector_typeIjLj3EEmmmmmmmmm.num_agpr, 0
	.set _ZL16k_get_rows_floatIf6__halfEvPKT_PKiPT0_ll15HIP_vector_typeIjLj3EEmmmmmmmmm.numbered_sgpr, 44
	.set _ZL16k_get_rows_floatIf6__halfEvPKT_PKiPT0_ll15HIP_vector_typeIjLj3EEmmmmmmmmm.num_named_barrier, 0
	.set _ZL16k_get_rows_floatIf6__halfEvPKT_PKiPT0_ll15HIP_vector_typeIjLj3EEmmmmmmmmm.private_seg_size, 0
	.set _ZL16k_get_rows_floatIf6__halfEvPKT_PKiPT0_ll15HIP_vector_typeIjLj3EEmmmmmmmmm.uses_vcc, 1
	.set _ZL16k_get_rows_floatIf6__halfEvPKT_PKiPT0_ll15HIP_vector_typeIjLj3EEmmmmmmmmm.uses_flat_scratch, 0
	.set _ZL16k_get_rows_floatIf6__halfEvPKT_PKiPT0_ll15HIP_vector_typeIjLj3EEmmmmmmmmm.has_dyn_sized_stack, 0
	.set _ZL16k_get_rows_floatIf6__halfEvPKT_PKiPT0_ll15HIP_vector_typeIjLj3EEmmmmmmmmm.has_recursion, 0
	.set _ZL16k_get_rows_floatIf6__halfEvPKT_PKiPT0_ll15HIP_vector_typeIjLj3EEmmmmmmmmm.has_indirect_call, 0
	.section	.AMDGPU.csdata,"",@progbits
; Kernel info:
; codeLenInByte = 664
; TotalNumSgprs: 50
; NumVgprs: 18
; NumAgprs: 0
; TotalNumVgprs: 18
; ScratchSize: 0
; MemoryBound: 0
; FloatMode: 240
; IeeeMode: 1
; LDSByteSize: 0 bytes/workgroup (compile time only)
; SGPRBlocks: 6
; VGPRBlocks: 2
; NumSGPRsForWavesPerEU: 50
; NumVGPRsForWavesPerEU: 18
; AccumOffset: 20
; Occupancy: 8
; WaveLimiterHint : 1
; COMPUTE_PGM_RSRC2:SCRATCH_EN: 0
; COMPUTE_PGM_RSRC2:USER_SGPR: 2
; COMPUTE_PGM_RSRC2:TRAP_HANDLER: 0
; COMPUTE_PGM_RSRC2:TGID_X_EN: 1
; COMPUTE_PGM_RSRC2:TGID_Y_EN: 1
; COMPUTE_PGM_RSRC2:TGID_Z_EN: 1
; COMPUTE_PGM_RSRC2:TIDIG_COMP_CNT: 0
; COMPUTE_PGM_RSRC3_GFX90A:ACCUM_OFFSET: 4
; COMPUTE_PGM_RSRC3_GFX90A:TG_SPLIT: 0
	.section	.text._ZL16k_get_rows_floatIi6__halfEvPKT_PKiPT0_ll15HIP_vector_typeIjLj3EEmmmmmmmmm,"axG",@progbits,_ZL16k_get_rows_floatIi6__halfEvPKT_PKiPT0_ll15HIP_vector_typeIjLj3EEmmmmmmmmm,comdat
	.globl	_ZL16k_get_rows_floatIi6__halfEvPKT_PKiPT0_ll15HIP_vector_typeIjLj3EEmmmmmmmmm ; -- Begin function _ZL16k_get_rows_floatIi6__halfEvPKT_PKiPT0_ll15HIP_vector_typeIjLj3EEmmmmmmmmm
	.p2align	8
	.type	_ZL16k_get_rows_floatIi6__halfEvPKT_PKiPT0_ll15HIP_vector_typeIjLj3EEmmmmmmmmm,@function
_ZL16k_get_rows_floatIi6__halfEvPKT_PKiPT0_ll15HIP_vector_typeIjLj3EEmmmmmmmmm: ; @_ZL16k_get_rows_floatIi6__halfEvPKT_PKiPT0_ll15HIP_vector_typeIjLj3EEmmmmmmmmm
; %bb.0:
	s_load_dwordx2 s[8:9], s[0:1], 0x20
	s_load_dwordx2 s[6:7], s[0:1], 0x2c
	s_mov_b32 s5, 0
	v_mov_b64_e32 v[2:3], s[4:5]
	s_waitcnt lgkmcnt(0)
	s_mul_i32 s9, s9, s7
	s_mul_hi_u32 s10, s8, s7
	s_add_i32 s39, s10, s9
	s_mul_i32 s38, s8, s7
	v_cmp_le_i64_e32 vcc, s[38:39], v[2:3]
	s_cbranch_vccnz .LBB22_6
; %bb.1:
	s_load_dwordx8 s[24:31], s[0:1], 0x0
	s_load_dword s33, s[0:1], 0x28
	s_load_dwordx2 s[34:35], s[0:1], 0x78
	s_load_dwordx2 s[36:37], s[0:1], 0x88
	s_load_dwordx16 s[8:23], s[0:1], 0x38
	s_waitcnt lgkmcnt(0)
	v_mov_b32_e32 v4, s24
	s_add_u32 s24, s0, 0x80
	v_mov_b32_e32 v5, s25
	s_addc_u32 s25, s1, 0
	s_and_b32 s37, s37, 0xffff
	s_mul_i32 s3, s3, s37
	v_add_u32_e32 v0, s3, v0
	s_ashr_i32 s3, s2, 31
	s_mul_hi_u32 s40, s20, s2
	s_mul_i32 s41, s20, s3
	s_add_i32 s40, s40, s41
	s_mul_i32 s21, s21, s2
	s_add_i32 s21, s40, s21
	s_mul_i32 s20, s20, s2
	s_lshl_b64 s[20:21], s[20:21], 2
	s_add_u32 s40, s26, s20
	s_mul_hi_u32 s20, s8, s2
	s_mul_i32 s3, s8, s3
	s_addc_u32 s41, s27, s21
	s_add_i32 s3, s20, s3
	s_mul_i32 s9, s9, s2
	s_add_i32 s3, s3, s9
	s_mul_i32 s2, s8, s2
	s_lshl_b64 s[2:3], s[2:3], 1
	s_add_u32 s2, s28, s2
	v_mov_b32_e32 v1, 0
	s_addc_u32 s3, s29, s3
	v_cmp_gt_i64_e64 s[0:1], s[30:31], v[0:1]
	v_lshl_add_u64 v[2:3], v[0:1], 1, s[2:3]
	s_lshl_b64 s[2:3], s[10:11], 1
	s_lshl_b64 s[8:9], s[12:13], 1
	v_lshl_add_u64 v[4:5], v[0:1], 2, v[4:5]
	v_mov_b64_e32 v[6:7], s[38:39]
	s_mov_b64 s[10:11], s[4:5]
	s_branch .LBB22_3
.LBB22_2:                               ;   in Loop: Header=BB22_3 Depth=1
	s_or_b64 exec, exec, s[12:13]
	s_add_u32 s10, s10, s36
	s_addc_u32 s11, s11, 0
	v_cmp_lt_i64_e32 vcc, s[10:11], v[6:7]
	s_cbranch_vccz .LBB22_6
.LBB22_3:                               ; =>This Loop Header: Depth=1
                                        ;     Child Loop BB22_5 Depth 2
	s_and_saveexec_b64 s[12:13], s[0:1]
	s_cbranch_execz .LBB22_2
; %bb.4:                                ;   in Loop: Header=BB22_3 Depth=1
	s_mul_hi_u32 s4, s10, s33
	s_add_i32 s4, s4, s10
	s_lshr_b32 s28, s4, s6
	s_mul_i32 s4, s28, s7
	s_ashr_i32 s38, s28, 31
	s_sub_i32 s29, s10, s4
	s_mul_i32 s4, s22, s38
	s_mul_hi_u32 s20, s22, s28
	s_add_i32 s4, s20, s4
	s_mul_i32 s20, s23, s28
	s_ashr_i32 s39, s29, 31
	s_add_i32 s21, s4, s20
	s_mul_i32 s4, s34, s39
	s_mul_hi_u32 s26, s34, s29
	s_mul_i32 s20, s22, s28
	s_add_i32 s4, s26, s4
	s_mul_i32 s26, s35, s29
	s_add_i32 s27, s4, s26
	s_lshl_b64 s[20:21], s[20:21], 2
	s_mul_i32 s26, s34, s29
	s_add_u32 s4, s40, s20
	s_addc_u32 s42, s41, s21
	s_lshl_b64 s[20:21], s[26:27], 2
	s_load_dword s27, s[24:25], 0x4
	s_add_u32 s20, s4, s20
	s_mul_i32 s4, s16, s38
	s_mul_hi_u32 s26, s16, s28
	s_addc_u32 s21, s42, s21
	s_add_i32 s4, s26, s4
	s_mul_i32 s26, s17, s28
	s_add_i32 s42, s4, s26
	s_waitcnt lgkmcnt(0)
	s_mul_i32 s4, s27, s37
	s_mul_i32 s26, s2, s38
	s_mul_hi_u32 s27, s2, s28
	s_add_i32 s26, s27, s26
	s_mul_i32 s27, s3, s28
	s_mul_i32 s43, s16, s28
	s_add_i32 s27, s26, s27
	s_mul_i32 s26, s2, s28
	s_mul_i32 s28, s8, s39
	s_mul_hi_u32 s38, s8, s29
	s_add_i32 s28, s38, s28
	s_mul_i32 s38, s9, s29
	s_add_i32 s28, s28, s38
	s_mul_i32 s38, s8, s29
	s_add_u32 s26, s26, s38
	s_addc_u32 s27, s27, s28
	s_mul_i32 s28, s18, s39
	s_mul_hi_u32 s38, s18, s29
	s_add_i32 s28, s38, s28
	s_mul_i32 s38, s19, s29
	v_lshl_add_u64 v[8:9], v[2:3], 0, s[26:27]
	s_lshl_b64 s[26:27], s[4:5], 1
	s_add_i32 s38, s28, s38
	s_mul_i32 s28, s18, s29
	s_add_u32 s28, s43, s28
	s_addc_u32 s29, s42, s38
	v_lshl_add_u64 v[10:11], v[4:5], 0, s[28:29]
	s_lshl_b64 s[28:29], s[4:5], 2
	s_mov_b64 s[38:39], 0
	v_mov_b64_e32 v[12:13], v[0:1]
.LBB22_5:                               ;   Parent Loop BB22_3 Depth=1
                                        ; =>  This Inner Loop Header: Depth=2
	global_load_dword v14, v1, s[20:21]
	v_lshl_add_u64 v[12:13], v[12:13], 0, s[4:5]
	v_cmp_le_i64_e32 vcc, s[30:31], v[12:13]
	s_or_b64 s[38:39], vcc, s[38:39]
	s_waitcnt vmcnt(0)
	v_ashrrev_i32_e32 v16, 31, v14
	v_mul_lo_u32 v17, s15, v14
	v_mul_lo_u32 v16, s14, v16
	v_mad_u64_u32 v[14:15], s[42:43], s14, v14, v[10:11]
	v_add_u32_e32 v16, v16, v17
	v_add_u32_e32 v15, v16, v15
	global_load_dword v14, v[14:15], off
	v_lshl_add_u64 v[10:11], v[10:11], 0, s[28:29]
	s_waitcnt vmcnt(0)
	v_cvt_f32_i32_e32 v14, v14
	v_cvt_f16_f32_e32 v14, v14
	global_store_short v[8:9], v14, off
	v_lshl_add_u64 v[8:9], v[8:9], 0, s[26:27]
	s_andn2_b64 exec, exec, s[38:39]
	s_cbranch_execnz .LBB22_5
	s_branch .LBB22_2
.LBB22_6:
	s_endpgm
	.section	.rodata,"a",@progbits
	.p2align	6, 0x0
	.amdhsa_kernel _ZL16k_get_rows_floatIi6__halfEvPKT_PKiPT0_ll15HIP_vector_typeIjLj3EEmmmmmmmmm
		.amdhsa_group_segment_fixed_size 0
		.amdhsa_private_segment_fixed_size 0
		.amdhsa_kernarg_size 384
		.amdhsa_user_sgpr_count 2
		.amdhsa_user_sgpr_dispatch_ptr 0
		.amdhsa_user_sgpr_queue_ptr 0
		.amdhsa_user_sgpr_kernarg_segment_ptr 1
		.amdhsa_user_sgpr_dispatch_id 0
		.amdhsa_user_sgpr_kernarg_preload_length 0
		.amdhsa_user_sgpr_kernarg_preload_offset 0
		.amdhsa_user_sgpr_private_segment_size 0
		.amdhsa_uses_dynamic_stack 0
		.amdhsa_enable_private_segment 0
		.amdhsa_system_sgpr_workgroup_id_x 1
		.amdhsa_system_sgpr_workgroup_id_y 1
		.amdhsa_system_sgpr_workgroup_id_z 1
		.amdhsa_system_sgpr_workgroup_info 0
		.amdhsa_system_vgpr_workitem_id 0
		.amdhsa_next_free_vgpr 18
		.amdhsa_next_free_sgpr 44
		.amdhsa_accum_offset 20
		.amdhsa_reserve_vcc 1
		.amdhsa_float_round_mode_32 0
		.amdhsa_float_round_mode_16_64 0
		.amdhsa_float_denorm_mode_32 3
		.amdhsa_float_denorm_mode_16_64 3
		.amdhsa_dx10_clamp 1
		.amdhsa_ieee_mode 1
		.amdhsa_fp16_overflow 0
		.amdhsa_tg_split 0
		.amdhsa_exception_fp_ieee_invalid_op 0
		.amdhsa_exception_fp_denorm_src 0
		.amdhsa_exception_fp_ieee_div_zero 0
		.amdhsa_exception_fp_ieee_overflow 0
		.amdhsa_exception_fp_ieee_underflow 0
		.amdhsa_exception_fp_ieee_inexact 0
		.amdhsa_exception_int_div_zero 0
	.end_amdhsa_kernel
	.section	.text._ZL16k_get_rows_floatIi6__halfEvPKT_PKiPT0_ll15HIP_vector_typeIjLj3EEmmmmmmmmm,"axG",@progbits,_ZL16k_get_rows_floatIi6__halfEvPKT_PKiPT0_ll15HIP_vector_typeIjLj3EEmmmmmmmmm,comdat
.Lfunc_end22:
	.size	_ZL16k_get_rows_floatIi6__halfEvPKT_PKiPT0_ll15HIP_vector_typeIjLj3EEmmmmmmmmm, .Lfunc_end22-_ZL16k_get_rows_floatIi6__halfEvPKT_PKiPT0_ll15HIP_vector_typeIjLj3EEmmmmmmmmm
                                        ; -- End function
	.set _ZL16k_get_rows_floatIi6__halfEvPKT_PKiPT0_ll15HIP_vector_typeIjLj3EEmmmmmmmmm.num_vgpr, 18
	.set _ZL16k_get_rows_floatIi6__halfEvPKT_PKiPT0_ll15HIP_vector_typeIjLj3EEmmmmmmmmm.num_agpr, 0
	.set _ZL16k_get_rows_floatIi6__halfEvPKT_PKiPT0_ll15HIP_vector_typeIjLj3EEmmmmmmmmm.numbered_sgpr, 44
	.set _ZL16k_get_rows_floatIi6__halfEvPKT_PKiPT0_ll15HIP_vector_typeIjLj3EEmmmmmmmmm.num_named_barrier, 0
	.set _ZL16k_get_rows_floatIi6__halfEvPKT_PKiPT0_ll15HIP_vector_typeIjLj3EEmmmmmmmmm.private_seg_size, 0
	.set _ZL16k_get_rows_floatIi6__halfEvPKT_PKiPT0_ll15HIP_vector_typeIjLj3EEmmmmmmmmm.uses_vcc, 1
	.set _ZL16k_get_rows_floatIi6__halfEvPKT_PKiPT0_ll15HIP_vector_typeIjLj3EEmmmmmmmmm.uses_flat_scratch, 0
	.set _ZL16k_get_rows_floatIi6__halfEvPKT_PKiPT0_ll15HIP_vector_typeIjLj3EEmmmmmmmmm.has_dyn_sized_stack, 0
	.set _ZL16k_get_rows_floatIi6__halfEvPKT_PKiPT0_ll15HIP_vector_typeIjLj3EEmmmmmmmmm.has_recursion, 0
	.set _ZL16k_get_rows_floatIi6__halfEvPKT_PKiPT0_ll15HIP_vector_typeIjLj3EEmmmmmmmmm.has_indirect_call, 0
	.section	.AMDGPU.csdata,"",@progbits
; Kernel info:
; codeLenInByte = 668
; TotalNumSgprs: 50
; NumVgprs: 18
; NumAgprs: 0
; TotalNumVgprs: 18
; ScratchSize: 0
; MemoryBound: 0
; FloatMode: 240
; IeeeMode: 1
; LDSByteSize: 0 bytes/workgroup (compile time only)
; SGPRBlocks: 6
; VGPRBlocks: 2
; NumSGPRsForWavesPerEU: 50
; NumVGPRsForWavesPerEU: 18
; AccumOffset: 20
; Occupancy: 8
; WaveLimiterHint : 1
; COMPUTE_PGM_RSRC2:SCRATCH_EN: 0
; COMPUTE_PGM_RSRC2:USER_SGPR: 2
; COMPUTE_PGM_RSRC2:TRAP_HANDLER: 0
; COMPUTE_PGM_RSRC2:TGID_X_EN: 1
; COMPUTE_PGM_RSRC2:TGID_Y_EN: 1
; COMPUTE_PGM_RSRC2:TGID_Z_EN: 1
; COMPUTE_PGM_RSRC2:TIDIG_COMP_CNT: 0
; COMPUTE_PGM_RSRC3_GFX90A:ACCUM_OFFSET: 4
; COMPUTE_PGM_RSRC3_GFX90A:TG_SPLIT: 0
	.section	.text._ZL16k_get_rows_floatI14__hip_bfloat166__halfEvPKT_PKiPT0_ll15HIP_vector_typeIjLj3EEmmmmmmmmm,"axG",@progbits,_ZL16k_get_rows_floatI14__hip_bfloat166__halfEvPKT_PKiPT0_ll15HIP_vector_typeIjLj3EEmmmmmmmmm,comdat
	.globl	_ZL16k_get_rows_floatI14__hip_bfloat166__halfEvPKT_PKiPT0_ll15HIP_vector_typeIjLj3EEmmmmmmmmm ; -- Begin function _ZL16k_get_rows_floatI14__hip_bfloat166__halfEvPKT_PKiPT0_ll15HIP_vector_typeIjLj3EEmmmmmmmmm
	.p2align	8
	.type	_ZL16k_get_rows_floatI14__hip_bfloat166__halfEvPKT_PKiPT0_ll15HIP_vector_typeIjLj3EEmmmmmmmmm,@function
_ZL16k_get_rows_floatI14__hip_bfloat166__halfEvPKT_PKiPT0_ll15HIP_vector_typeIjLj3EEmmmmmmmmm: ; @_ZL16k_get_rows_floatI14__hip_bfloat166__halfEvPKT_PKiPT0_ll15HIP_vector_typeIjLj3EEmmmmmmmmm
; %bb.0:
	s_load_dwordx2 s[8:9], s[0:1], 0x20
	s_load_dwordx2 s[6:7], s[0:1], 0x2c
	s_mov_b32 s5, 0
	v_mov_b64_e32 v[2:3], s[4:5]
	s_waitcnt lgkmcnt(0)
	s_mul_i32 s9, s9, s7
	s_mul_hi_u32 s10, s8, s7
	s_add_i32 s41, s10, s9
	s_mul_i32 s40, s8, s7
	v_cmp_le_i64_e32 vcc, s[40:41], v[2:3]
	s_cbranch_vccnz .LBB23_6
; %bb.1:
	s_load_dwordx8 s[24:31], s[0:1], 0x0
	s_load_dwordx2 s[34:35], s[0:1], 0x78
	s_load_dwordx2 s[36:37], s[0:1], 0x88
	s_load_dword s33, s[0:1], 0x28
	s_load_dwordx16 s[8:23], s[0:1], 0x38
	s_add_u32 s38, s0, 0x80
	s_addc_u32 s39, s1, 0
	s_waitcnt lgkmcnt(0)
	s_and_b32 s37, s37, 0xffff
	s_mul_i32 s3, s3, s37
	v_add_u32_e32 v0, s3, v0
	s_ashr_i32 s3, s2, 31
	s_mul_hi_u32 s42, s20, s2
	s_mul_i32 s43, s20, s3
	s_add_i32 s42, s42, s43
	s_mul_i32 s21, s21, s2
	s_add_i32 s21, s42, s21
	s_mul_i32 s20, s20, s2
	s_lshl_b64 s[20:21], s[20:21], 2
	s_add_u32 s42, s26, s20
	s_mul_hi_u32 s20, s8, s2
	s_mul_i32 s3, s8, s3
	s_addc_u32 s43, s27, s21
	s_add_i32 s3, s20, s3
	s_mul_i32 s9, s9, s2
	s_add_i32 s3, s3, s9
	s_mul_i32 s2, s8, s2
	s_lshl_b64 s[2:3], s[2:3], 1
	v_mov_b32_e32 v1, 0
	s_add_u32 s2, s28, s2
	v_lshlrev_b64 v[4:5], 1, v[0:1]
	s_addc_u32 s3, s29, s3
	v_cmp_gt_i64_e64 s[0:1], s[30:31], v[0:1]
	v_lshl_add_u64 v[2:3], s[2:3], 0, v[4:5]
	s_lshl_b64 s[2:3], s[10:11], 1
	s_lshl_b64 s[8:9], s[12:13], 1
	v_lshl_add_u64 v[4:5], s[24:25], 0, v[4:5]
	v_mov_b64_e32 v[6:7], s[40:41]
	s_mov_b64 s[10:11], s[4:5]
	s_branch .LBB23_3
.LBB23_2:                               ;   in Loop: Header=BB23_3 Depth=1
	s_or_b64 exec, exec, s[12:13]
	s_add_u32 s10, s10, s36
	s_addc_u32 s11, s11, 0
	v_cmp_lt_i64_e32 vcc, s[10:11], v[6:7]
	s_cbranch_vccz .LBB23_6
.LBB23_3:                               ; =>This Loop Header: Depth=1
                                        ;     Child Loop BB23_5 Depth 2
	s_and_saveexec_b64 s[12:13], s[0:1]
	s_cbranch_execz .LBB23_2
; %bb.4:                                ;   in Loop: Header=BB23_3 Depth=1
	s_mul_hi_u32 s4, s10, s33
	s_add_i32 s4, s4, s10
	s_lshr_b32 s26, s4, s6
	s_mul_i32 s4, s26, s7
	s_ashr_i32 s28, s26, 31
	s_sub_i32 s27, s10, s4
	s_mul_i32 s4, s22, s28
	s_mul_hi_u32 s20, s22, s26
	s_add_i32 s4, s20, s4
	s_mul_i32 s20, s23, s26
	s_ashr_i32 s29, s27, 31
	s_add_i32 s21, s4, s20
	s_mul_i32 s4, s34, s29
	s_mul_hi_u32 s24, s34, s27
	s_mul_i32 s20, s22, s26
	s_add_i32 s4, s24, s4
	s_mul_i32 s24, s35, s27
	s_add_i32 s25, s4, s24
	s_lshl_b64 s[20:21], s[20:21], 2
	s_mul_i32 s24, s34, s27
	s_add_u32 s4, s42, s20
	s_addc_u32 s40, s43, s21
	s_lshl_b64 s[20:21], s[24:25], 2
	s_load_dword s25, s[38:39], 0x4
	s_add_u32 s20, s4, s20
	s_mul_i32 s4, s16, s28
	s_mul_hi_u32 s24, s16, s26
	s_addc_u32 s21, s40, s21
	s_add_i32 s4, s24, s4
	s_mul_i32 s24, s17, s26
	s_add_i32 s40, s4, s24
	s_waitcnt lgkmcnt(0)
	s_mul_i32 s4, s25, s37
	s_mul_i32 s24, s2, s28
	s_mul_hi_u32 s25, s2, s26
	s_add_i32 s24, s25, s24
	s_mul_i32 s25, s3, s26
	s_mul_i32 s41, s16, s26
	s_add_i32 s25, s24, s25
	s_mul_i32 s24, s2, s26
	s_mul_i32 s26, s8, s29
	s_mul_hi_u32 s28, s8, s27
	s_add_i32 s26, s28, s26
	s_mul_i32 s28, s9, s27
	s_add_i32 s26, s26, s28
	s_mul_i32 s28, s8, s27
	s_add_u32 s24, s24, s28
	s_addc_u32 s25, s25, s26
	s_mul_i32 s26, s18, s29
	s_mul_hi_u32 s28, s18, s27
	s_add_i32 s26, s28, s26
	s_mul_i32 s28, s19, s27
	v_lshl_add_u64 v[8:9], v[2:3], 0, s[24:25]
	s_lshl_b64 s[24:25], s[4:5], 1
	s_add_i32 s28, s26, s28
	s_mul_i32 s26, s18, s27
	s_add_u32 s26, s41, s26
	s_addc_u32 s27, s40, s28
	v_lshl_add_u64 v[10:11], v[4:5], 0, s[26:27]
	s_mov_b64 s[26:27], 0
	s_mov_b64 s[28:29], 0
	v_mov_b64_e32 v[12:13], v[0:1]
.LBB23_5:                               ;   Parent Loop BB23_3 Depth=1
                                        ; =>  This Inner Loop Header: Depth=2
	global_load_dword v14, v1, s[20:21]
	v_lshl_add_u64 v[12:13], v[12:13], 0, s[4:5]
	v_cmp_le_i64_e32 vcc, s[30:31], v[12:13]
	s_waitcnt vmcnt(0)
	v_ashrrev_i32_e32 v15, 31, v14
	v_mul_hi_u32 v16, s14, v14
	v_mul_lo_u32 v15, s14, v15
	v_mul_lo_u32 v17, s15, v14
	v_add_u32_e32 v15, v16, v15
	v_mul_lo_u32 v14, s14, v14
	v_add_u32_e32 v15, v15, v17
	v_lshl_add_u64 v[14:15], s[28:29], 0, v[14:15]
	v_lshl_add_u64 v[14:15], v[10:11], 0, v[14:15]
	global_load_ushort v16, v[14:15], off
	v_lshl_add_u64 v[14:15], v[8:9], 0, s[28:29]
	s_add_u32 s28, s28, s24
	s_addc_u32 s29, s29, s25
	s_or_b64 s[26:27], vcc, s[26:27]
	s_waitcnt vmcnt(0)
	v_lshlrev_b32_e32 v16, 16, v16
	v_cvt_f16_f32_e32 v16, v16
	global_store_short v[14:15], v16, off
	s_andn2_b64 exec, exec, s[26:27]
	s_cbranch_execnz .LBB23_5
	s_branch .LBB23_2
.LBB23_6:
	s_endpgm
	.section	.rodata,"a",@progbits
	.p2align	6, 0x0
	.amdhsa_kernel _ZL16k_get_rows_floatI14__hip_bfloat166__halfEvPKT_PKiPT0_ll15HIP_vector_typeIjLj3EEmmmmmmmmm
		.amdhsa_group_segment_fixed_size 0
		.amdhsa_private_segment_fixed_size 0
		.amdhsa_kernarg_size 384
		.amdhsa_user_sgpr_count 2
		.amdhsa_user_sgpr_dispatch_ptr 0
		.amdhsa_user_sgpr_queue_ptr 0
		.amdhsa_user_sgpr_kernarg_segment_ptr 1
		.amdhsa_user_sgpr_dispatch_id 0
		.amdhsa_user_sgpr_kernarg_preload_length 0
		.amdhsa_user_sgpr_kernarg_preload_offset 0
		.amdhsa_user_sgpr_private_segment_size 0
		.amdhsa_uses_dynamic_stack 0
		.amdhsa_enable_private_segment 0
		.amdhsa_system_sgpr_workgroup_id_x 1
		.amdhsa_system_sgpr_workgroup_id_y 1
		.amdhsa_system_sgpr_workgroup_id_z 1
		.amdhsa_system_sgpr_workgroup_info 0
		.amdhsa_system_vgpr_workitem_id 0
		.amdhsa_next_free_vgpr 18
		.amdhsa_next_free_sgpr 44
		.amdhsa_accum_offset 20
		.amdhsa_reserve_vcc 1
		.amdhsa_float_round_mode_32 0
		.amdhsa_float_round_mode_16_64 0
		.amdhsa_float_denorm_mode_32 3
		.amdhsa_float_denorm_mode_16_64 3
		.amdhsa_dx10_clamp 1
		.amdhsa_ieee_mode 1
		.amdhsa_fp16_overflow 0
		.amdhsa_tg_split 0
		.amdhsa_exception_fp_ieee_invalid_op 0
		.amdhsa_exception_fp_denorm_src 0
		.amdhsa_exception_fp_ieee_div_zero 0
		.amdhsa_exception_fp_ieee_overflow 0
		.amdhsa_exception_fp_ieee_underflow 0
		.amdhsa_exception_fp_ieee_inexact 0
		.amdhsa_exception_int_div_zero 0
	.end_amdhsa_kernel
	.section	.text._ZL16k_get_rows_floatI14__hip_bfloat166__halfEvPKT_PKiPT0_ll15HIP_vector_typeIjLj3EEmmmmmmmmm,"axG",@progbits,_ZL16k_get_rows_floatI14__hip_bfloat166__halfEvPKT_PKiPT0_ll15HIP_vector_typeIjLj3EEmmmmmmmmm,comdat
.Lfunc_end23:
	.size	_ZL16k_get_rows_floatI14__hip_bfloat166__halfEvPKT_PKiPT0_ll15HIP_vector_typeIjLj3EEmmmmmmmmm, .Lfunc_end23-_ZL16k_get_rows_floatI14__hip_bfloat166__halfEvPKT_PKiPT0_ll15HIP_vector_typeIjLj3EEmmmmmmmmm
                                        ; -- End function
	.set _ZL16k_get_rows_floatI14__hip_bfloat166__halfEvPKT_PKiPT0_ll15HIP_vector_typeIjLj3EEmmmmmmmmm.num_vgpr, 18
	.set _ZL16k_get_rows_floatI14__hip_bfloat166__halfEvPKT_PKiPT0_ll15HIP_vector_typeIjLj3EEmmmmmmmmm.num_agpr, 0
	.set _ZL16k_get_rows_floatI14__hip_bfloat166__halfEvPKT_PKiPT0_ll15HIP_vector_typeIjLj3EEmmmmmmmmm.numbered_sgpr, 44
	.set _ZL16k_get_rows_floatI14__hip_bfloat166__halfEvPKT_PKiPT0_ll15HIP_vector_typeIjLj3EEmmmmmmmmm.num_named_barrier, 0
	.set _ZL16k_get_rows_floatI14__hip_bfloat166__halfEvPKT_PKiPT0_ll15HIP_vector_typeIjLj3EEmmmmmmmmm.private_seg_size, 0
	.set _ZL16k_get_rows_floatI14__hip_bfloat166__halfEvPKT_PKiPT0_ll15HIP_vector_typeIjLj3EEmmmmmmmmm.uses_vcc, 1
	.set _ZL16k_get_rows_floatI14__hip_bfloat166__halfEvPKT_PKiPT0_ll15HIP_vector_typeIjLj3EEmmmmmmmmm.uses_flat_scratch, 0
	.set _ZL16k_get_rows_floatI14__hip_bfloat166__halfEvPKT_PKiPT0_ll15HIP_vector_typeIjLj3EEmmmmmmmmm.has_dyn_sized_stack, 0
	.set _ZL16k_get_rows_floatI14__hip_bfloat166__halfEvPKT_PKiPT0_ll15HIP_vector_typeIjLj3EEmmmmmmmmm.has_recursion, 0
	.set _ZL16k_get_rows_floatI14__hip_bfloat166__halfEvPKT_PKiPT0_ll15HIP_vector_typeIjLj3EEmmmmmmmmm.has_indirect_call, 0
	.section	.AMDGPU.csdata,"",@progbits
; Kernel info:
; codeLenInByte = 692
; TotalNumSgprs: 50
; NumVgprs: 18
; NumAgprs: 0
; TotalNumVgprs: 18
; ScratchSize: 0
; MemoryBound: 0
; FloatMode: 240
; IeeeMode: 1
; LDSByteSize: 0 bytes/workgroup (compile time only)
; SGPRBlocks: 6
; VGPRBlocks: 2
; NumSGPRsForWavesPerEU: 50
; NumVGPRsForWavesPerEU: 18
; AccumOffset: 20
; Occupancy: 8
; WaveLimiterHint : 1
; COMPUTE_PGM_RSRC2:SCRATCH_EN: 0
; COMPUTE_PGM_RSRC2:USER_SGPR: 2
; COMPUTE_PGM_RSRC2:TRAP_HANDLER: 0
; COMPUTE_PGM_RSRC2:TGID_X_EN: 1
; COMPUTE_PGM_RSRC2:TGID_Y_EN: 1
; COMPUTE_PGM_RSRC2:TGID_Z_EN: 1
; COMPUTE_PGM_RSRC2:TIDIG_COMP_CNT: 0
; COMPUTE_PGM_RSRC3_GFX90A:ACCUM_OFFSET: 4
; COMPUTE_PGM_RSRC3_GFX90A:TG_SPLIT: 0
	.section	.text._ZL10k_get_rowsILi128ELi1EXadL_ZL15dequantize_q1_0PKvliR15HIP_vector_typeIfLj2EEEE6__halfEvS1_PKiPT2_llS2_IjLj3EEmmmmmmmmm,"axG",@progbits,_ZL10k_get_rowsILi128ELi1EXadL_ZL15dequantize_q1_0PKvliR15HIP_vector_typeIfLj2EEEE6__halfEvS1_PKiPT2_llS2_IjLj3EEmmmmmmmmm,comdat
	.globl	_ZL10k_get_rowsILi128ELi1EXadL_ZL15dequantize_q1_0PKvliR15HIP_vector_typeIfLj2EEEE6__halfEvS1_PKiPT2_llS2_IjLj3EEmmmmmmmmm ; -- Begin function _ZL10k_get_rowsILi128ELi1EXadL_ZL15dequantize_q1_0PKvliR15HIP_vector_typeIfLj2EEEE6__halfEvS1_PKiPT2_llS2_IjLj3EEmmmmmmmmm
	.p2align	8
	.type	_ZL10k_get_rowsILi128ELi1EXadL_ZL15dequantize_q1_0PKvliR15HIP_vector_typeIfLj2EEEE6__halfEvS1_PKiPT2_llS2_IjLj3EEmmmmmmmmm,@function
_ZL10k_get_rowsILi128ELi1EXadL_ZL15dequantize_q1_0PKvliR15HIP_vector_typeIfLj2EEEE6__halfEvS1_PKiPT2_llS2_IjLj3EEmmmmmmmmm: ; @_ZL10k_get_rowsILi128ELi1EXadL_ZL15dequantize_q1_0PKvliR15HIP_vector_typeIfLj2EEEE6__halfEvS1_PKiPT2_llS2_IjLj3EEmmmmmmmmm
; %bb.0:
	s_load_dwordx4 s[24:27], s[0:1], 0x18
	s_load_dwordx2 s[6:7], s[0:1], 0x2c
	s_mov_b32 s5, 0
	v_mov_b64_e32 v[2:3], s[4:5]
	s_waitcnt lgkmcnt(0)
	s_mul_i32 s8, s27, s7
	s_mul_hi_u32 s9, s26, s7
	s_add_i32 s39, s9, s8
	s_mul_i32 s38, s26, s7
	v_cmp_le_i64_e32 vcc, s[38:39], v[2:3]
	s_cbranch_vccnz .LBB24_6
; %bb.1:
	s_load_dwordx4 s[28:31], s[0:1], 0x0
	s_load_dwordx2 s[40:41], s[0:1], 0x10
	s_load_dwordx2 s[26:27], s[0:1], 0x78
	;; [unrolled: 1-line block ×3, first 2 shown]
	s_load_dword s33, s[0:1], 0x28
	s_load_dwordx16 s[8:23], s[0:1], 0x38
	s_add_u32 s36, s0, 0x80
	s_addc_u32 s37, s1, 0
	s_waitcnt lgkmcnt(0)
	s_and_b32 s35, s35, 0xffff
	s_mul_i32 s3, s3, s35
	v_add_lshl_u32 v0, s3, v0, 1
	s_ashr_i32 s3, s2, 31
	s_mul_hi_u32 s42, s20, s2
	s_mul_i32 s43, s20, s3
	s_add_i32 s42, s42, s43
	s_mul_i32 s21, s21, s2
	s_add_i32 s21, s42, s21
	s_mul_i32 s20, s20, s2
	s_lshl_b64 s[20:21], s[20:21], 2
	s_add_u32 s44, s30, s20
	s_mul_hi_u32 s20, s8, s2
	s_mul_i32 s3, s8, s3
	s_addc_u32 s45, s31, s21
	s_add_i32 s3, s20, s3
	s_mul_i32 s9, s9, s2
	s_add_i32 s3, s3, s9
	s_mul_i32 s2, s8, s2
	s_lshl_b64 s[2:3], s[2:3], 1
	v_mov_b32_e32 v1, 0
	s_add_u32 s46, s40, s2
	v_mov_b64_e32 v[2:3], v[0:1]
	v_cmp_gt_i64_e64 s[0:1], s[24:25], v[0:1]
	s_addc_u32 s47, s41, s3
	v_lshlrev_b64 v[4:5], 25, v[0:1]
	v_mov_b32_e32 v6, v1
	v_mov_b32_e32 v7, v0
	v_mov_b64_e32 v[8:9], s[38:39]
	s_mov_b64 s[2:3], s[4:5]
	s_branch .LBB24_3
.LBB24_2:                               ;   in Loop: Header=BB24_3 Depth=1
	s_or_b64 exec, exec, s[8:9]
	s_add_u32 s2, s2, s34
	s_addc_u32 s3, s3, 0
	v_cmp_ge_i64_e32 vcc, s[2:3], v[8:9]
	s_cbranch_vccnz .LBB24_6
.LBB24_3:                               ; =>This Loop Header: Depth=1
                                        ;     Child Loop BB24_5 Depth 2
	s_and_saveexec_b64 s[8:9], s[0:1]
	s_cbranch_execz .LBB24_2
; %bb.4:                                ;   in Loop: Header=BB24_3 Depth=1
	s_mul_hi_u32 s4, s2, s33
	s_add_i32 s4, s4, s2
	s_lshr_b32 s4, s4, s6
	s_mul_i32 s20, s4, s7
	s_sub_i32 s38, s2, s20
	s_ashr_i32 s39, s4, 31
	s_mul_i32 s20, s22, s39
	s_mul_hi_u32 s21, s22, s4
	s_ashr_i32 s40, s38, 31
	s_add_i32 s20, s21, s20
	s_mul_i32 s21, s23, s4
	s_mul_i32 s30, s26, s40
	s_mul_hi_u32 s31, s26, s38
	s_add_i32 s21, s20, s21
	s_mul_i32 s20, s22, s4
	s_add_i32 s30, s31, s30
	s_mul_i32 s31, s27, s38
	s_add_i32 s31, s30, s31
	s_lshl_b64 s[20:21], s[20:21], 2
	s_mul_i32 s30, s26, s38
	s_add_u32 s41, s44, s20
	s_addc_u32 s42, s45, s21
	s_lshl_b64 s[20:21], s[30:31], 2
	s_add_u32 s20, s41, s20
	s_addc_u32 s21, s42, s21
	s_load_dword s30, s[20:21], 0x0
	s_mul_i32 s20, s10, s39
	s_mul_hi_u32 s21, s10, s4
	s_add_i32 s20, s21, s20
	s_mul_i32 s21, s11, s4
	s_add_i32 s21, s20, s21
	s_mul_i32 s20, s10, s4
	s_waitcnt lgkmcnt(0)
	s_ashr_i32 s31, s30, 31
	s_lshl_b64 s[20:21], s[20:21], 1
	s_add_u32 s41, s46, s20
	s_addc_u32 s42, s47, s21
	s_mul_i32 s20, s12, s40
	s_mul_hi_u32 s21, s12, s38
	s_add_i32 s20, s21, s20
	s_mul_i32 s21, s13, s38
	s_add_i32 s21, s20, s21
	s_mul_i32 s20, s12, s38
	s_lshl_b64 s[20:21], s[20:21], 1
	s_add_u32 s20, s41, s20
	s_mul_i32 s31, s14, s31
	s_mul_hi_u32 s41, s14, s30
	s_addc_u32 s21, s42, s21
	s_add_i32 s31, s41, s31
	s_mul_i32 s41, s15, s30
	s_add_i32 s31, s31, s41
	s_mul_i32 s30, s14, s30
	s_add_u32 s30, s28, s30
	s_mul_i32 s39, s16, s39
	s_mul_hi_u32 s41, s16, s4
	s_addc_u32 s31, s29, s31
	s_add_i32 s39, s41, s39
	s_mul_i32 s41, s17, s4
	s_add_i32 s39, s39, s41
	s_mul_i32 s4, s16, s4
	s_add_u32 s4, s30, s4
	s_mul_i32 s30, s18, s40
	s_load_dword s40, s[36:37], 0x4
	s_addc_u32 s31, s31, s39
	s_mul_hi_u32 s39, s18, s38
	s_add_i32 s30, s39, s30
	s_mul_i32 s39, s19, s38
	s_add_i32 s39, s30, s39
	s_mul_i32 s30, s18, s38
	s_add_u32 s30, s4, s30
	s_waitcnt lgkmcnt(0)
	s_mul_i32 s4, s40, s35
	s_addc_u32 s31, s31, s39
	s_lshl_b64 s[38:39], s[4:5], 25
	s_mov_b32 s40, s5
	s_mov_b32 s41, s4
	s_mov_b64 s[42:43], 0
	v_mov_b64_e32 v[10:11], v[6:7]
	v_mov_b64_e32 v[12:13], v[4:5]
	;; [unrolled: 1-line block ×3, first 2 shown]
.LBB24_5:                               ;   Parent Loop BB24_3 Depth=1
                                        ; =>  This Inner Loop Header: Depth=2
	v_and_b32_e32 v18, 0x7f, v14
	v_mad_i64_i32 v[16:17], s[48:49], v13, 18, s[30:31]
	v_bfe_u32 v0, v14, 3, 4
	v_add_u32_e32 v23, 1, v18
	v_mov_b32_e32 v19, v1
	v_lshl_add_u64 v[20:21], v[16:17], 0, v[0:1]
	v_lshrrev_b32_e32 v18, 3, v23
	global_load_ushort v22, v[16:17], off
	global_load_ubyte v0, v[20:21], off offset:2
	v_lshl_add_u64 v[16:17], v[16:17], 0, v[18:19]
	global_load_ubyte v18, v[16:17], off offset:2
	v_and_b32_e32 v19, 7, v14
	v_and_b32_e32 v20, 7, v23
	v_lshl_add_u64 v[14:15], v[14:15], 0, s[4:5]
	v_ashrrev_i64 v[16:17], 31, v[10:11]
	v_cmp_le_i64_e32 vcc, s[24:25], v[14:15]
	v_lshl_add_u64 v[12:13], v[12:13], 0, s[38:39]
	v_lshl_add_u64 v[10:11], v[10:11], 0, s[40:41]
	;; [unrolled: 1-line block ×3, first 2 shown]
	s_or_b64 s[42:43], vcc, s[42:43]
	s_waitcnt vmcnt(2)
	v_cvt_f32_f16_e32 v21, v22
	s_waitcnt vmcnt(1)
	v_lshrrev_b32_e32 v0, v19, v0
	v_lshlrev_b32_e32 v0, 1, v0
	s_waitcnt vmcnt(0)
	v_lshrrev_b32_e32 v18, v20, v18
	v_lshlrev_b32_e32 v18, 1, v18
	v_and_b32_e32 v0, 2, v0
	v_and_b32_e32 v18, 2, v18
	v_add_u32_e32 v0, -1, v0
	v_add_u32_e32 v18, -1, v18
	v_cvt_f32_i32_e32 v0, v0
	v_cvt_f32_i32_e32 v18, v18
	v_mul_f32_e32 v0, v21, v0
	v_mul_f32_e32 v18, v21, v18
	v_cvt_pk_f16_f32 v0, v0, v18
	global_store_dword v[16:17], v0, off
	s_andn2_b64 exec, exec, s[42:43]
	s_cbranch_execnz .LBB24_5
	s_branch .LBB24_2
.LBB24_6:
	s_endpgm
	.section	.rodata,"a",@progbits
	.p2align	6, 0x0
	.amdhsa_kernel _ZL10k_get_rowsILi128ELi1EXadL_ZL15dequantize_q1_0PKvliR15HIP_vector_typeIfLj2EEEE6__halfEvS1_PKiPT2_llS2_IjLj3EEmmmmmmmmm
		.amdhsa_group_segment_fixed_size 0
		.amdhsa_private_segment_fixed_size 0
		.amdhsa_kernarg_size 384
		.amdhsa_user_sgpr_count 2
		.amdhsa_user_sgpr_dispatch_ptr 0
		.amdhsa_user_sgpr_queue_ptr 0
		.amdhsa_user_sgpr_kernarg_segment_ptr 1
		.amdhsa_user_sgpr_dispatch_id 0
		.amdhsa_user_sgpr_kernarg_preload_length 0
		.amdhsa_user_sgpr_kernarg_preload_offset 0
		.amdhsa_user_sgpr_private_segment_size 0
		.amdhsa_uses_dynamic_stack 0
		.amdhsa_enable_private_segment 0
		.amdhsa_system_sgpr_workgroup_id_x 1
		.amdhsa_system_sgpr_workgroup_id_y 1
		.amdhsa_system_sgpr_workgroup_id_z 1
		.amdhsa_system_sgpr_workgroup_info 0
		.amdhsa_system_vgpr_workitem_id 0
		.amdhsa_next_free_vgpr 24
		.amdhsa_next_free_sgpr 50
		.amdhsa_accum_offset 24
		.amdhsa_reserve_vcc 1
		.amdhsa_float_round_mode_32 0
		.amdhsa_float_round_mode_16_64 0
		.amdhsa_float_denorm_mode_32 3
		.amdhsa_float_denorm_mode_16_64 3
		.amdhsa_dx10_clamp 1
		.amdhsa_ieee_mode 1
		.amdhsa_fp16_overflow 0
		.amdhsa_tg_split 0
		.amdhsa_exception_fp_ieee_invalid_op 0
		.amdhsa_exception_fp_denorm_src 0
		.amdhsa_exception_fp_ieee_div_zero 0
		.amdhsa_exception_fp_ieee_overflow 0
		.amdhsa_exception_fp_ieee_underflow 0
		.amdhsa_exception_fp_ieee_inexact 0
		.amdhsa_exception_int_div_zero 0
	.end_amdhsa_kernel
	.section	.text._ZL10k_get_rowsILi128ELi1EXadL_ZL15dequantize_q1_0PKvliR15HIP_vector_typeIfLj2EEEE6__halfEvS1_PKiPT2_llS2_IjLj3EEmmmmmmmmm,"axG",@progbits,_ZL10k_get_rowsILi128ELi1EXadL_ZL15dequantize_q1_0PKvliR15HIP_vector_typeIfLj2EEEE6__halfEvS1_PKiPT2_llS2_IjLj3EEmmmmmmmmm,comdat
.Lfunc_end24:
	.size	_ZL10k_get_rowsILi128ELi1EXadL_ZL15dequantize_q1_0PKvliR15HIP_vector_typeIfLj2EEEE6__halfEvS1_PKiPT2_llS2_IjLj3EEmmmmmmmmm, .Lfunc_end24-_ZL10k_get_rowsILi128ELi1EXadL_ZL15dequantize_q1_0PKvliR15HIP_vector_typeIfLj2EEEE6__halfEvS1_PKiPT2_llS2_IjLj3EEmmmmmmmmm
                                        ; -- End function
	.set _ZL10k_get_rowsILi128ELi1EXadL_ZL15dequantize_q1_0PKvliR15HIP_vector_typeIfLj2EEEE6__halfEvS1_PKiPT2_llS2_IjLj3EEmmmmmmmmm.num_vgpr, 24
	.set _ZL10k_get_rowsILi128ELi1EXadL_ZL15dequantize_q1_0PKvliR15HIP_vector_typeIfLj2EEEE6__halfEvS1_PKiPT2_llS2_IjLj3EEmmmmmmmmm.num_agpr, 0
	.set _ZL10k_get_rowsILi128ELi1EXadL_ZL15dequantize_q1_0PKvliR15HIP_vector_typeIfLj2EEEE6__halfEvS1_PKiPT2_llS2_IjLj3EEmmmmmmmmm.numbered_sgpr, 50
	.set _ZL10k_get_rowsILi128ELi1EXadL_ZL15dequantize_q1_0PKvliR15HIP_vector_typeIfLj2EEEE6__halfEvS1_PKiPT2_llS2_IjLj3EEmmmmmmmmm.num_named_barrier, 0
	.set _ZL10k_get_rowsILi128ELi1EXadL_ZL15dequantize_q1_0PKvliR15HIP_vector_typeIfLj2EEEE6__halfEvS1_PKiPT2_llS2_IjLj3EEmmmmmmmmm.private_seg_size, 0
	.set _ZL10k_get_rowsILi128ELi1EXadL_ZL15dequantize_q1_0PKvliR15HIP_vector_typeIfLj2EEEE6__halfEvS1_PKiPT2_llS2_IjLj3EEmmmmmmmmm.uses_vcc, 1
	.set _ZL10k_get_rowsILi128ELi1EXadL_ZL15dequantize_q1_0PKvliR15HIP_vector_typeIfLj2EEEE6__halfEvS1_PKiPT2_llS2_IjLj3EEmmmmmmmmm.uses_flat_scratch, 0
	.set _ZL10k_get_rowsILi128ELi1EXadL_ZL15dequantize_q1_0PKvliR15HIP_vector_typeIfLj2EEEE6__halfEvS1_PKiPT2_llS2_IjLj3EEmmmmmmmmm.has_dyn_sized_stack, 0
	.set _ZL10k_get_rowsILi128ELi1EXadL_ZL15dequantize_q1_0PKvliR15HIP_vector_typeIfLj2EEEE6__halfEvS1_PKiPT2_llS2_IjLj3EEmmmmmmmmm.has_recursion, 0
	.set _ZL10k_get_rowsILi128ELi1EXadL_ZL15dequantize_q1_0PKvliR15HIP_vector_typeIfLj2EEEE6__halfEvS1_PKiPT2_llS2_IjLj3EEmmmmmmmmm.has_indirect_call, 0
	.section	.AMDGPU.csdata,"",@progbits
; Kernel info:
; codeLenInByte = 840
; TotalNumSgprs: 56
; NumVgprs: 24
; NumAgprs: 0
; TotalNumVgprs: 24
; ScratchSize: 0
; MemoryBound: 0
; FloatMode: 240
; IeeeMode: 1
; LDSByteSize: 0 bytes/workgroup (compile time only)
; SGPRBlocks: 6
; VGPRBlocks: 2
; NumSGPRsForWavesPerEU: 56
; NumVGPRsForWavesPerEU: 24
; AccumOffset: 24
; Occupancy: 8
; WaveLimiterHint : 1
; COMPUTE_PGM_RSRC2:SCRATCH_EN: 0
; COMPUTE_PGM_RSRC2:USER_SGPR: 2
; COMPUTE_PGM_RSRC2:TRAP_HANDLER: 0
; COMPUTE_PGM_RSRC2:TGID_X_EN: 1
; COMPUTE_PGM_RSRC2:TGID_Y_EN: 1
; COMPUTE_PGM_RSRC2:TGID_Z_EN: 1
; COMPUTE_PGM_RSRC2:TIDIG_COMP_CNT: 0
; COMPUTE_PGM_RSRC3_GFX90A:ACCUM_OFFSET: 5
; COMPUTE_PGM_RSRC3_GFX90A:TG_SPLIT: 0
	.section	.text._ZL10k_get_rowsILi32ELi2EXadL_ZL15dequantize_q4_0PKvliR15HIP_vector_typeIfLj2EEEE6__halfEvS1_PKiPT2_llS2_IjLj3EEmmmmmmmmm,"axG",@progbits,_ZL10k_get_rowsILi32ELi2EXadL_ZL15dequantize_q4_0PKvliR15HIP_vector_typeIfLj2EEEE6__halfEvS1_PKiPT2_llS2_IjLj3EEmmmmmmmmm,comdat
	.globl	_ZL10k_get_rowsILi32ELi2EXadL_ZL15dequantize_q4_0PKvliR15HIP_vector_typeIfLj2EEEE6__halfEvS1_PKiPT2_llS2_IjLj3EEmmmmmmmmm ; -- Begin function _ZL10k_get_rowsILi32ELi2EXadL_ZL15dequantize_q4_0PKvliR15HIP_vector_typeIfLj2EEEE6__halfEvS1_PKiPT2_llS2_IjLj3EEmmmmmmmmm
	.p2align	8
	.type	_ZL10k_get_rowsILi32ELi2EXadL_ZL15dequantize_q4_0PKvliR15HIP_vector_typeIfLj2EEEE6__halfEvS1_PKiPT2_llS2_IjLj3EEmmmmmmmmm,@function
_ZL10k_get_rowsILi32ELi2EXadL_ZL15dequantize_q4_0PKvliR15HIP_vector_typeIfLj2EEEE6__halfEvS1_PKiPT2_llS2_IjLj3EEmmmmmmmmm: ; @_ZL10k_get_rowsILi32ELi2EXadL_ZL15dequantize_q4_0PKvliR15HIP_vector_typeIfLj2EEEE6__halfEvS1_PKiPT2_llS2_IjLj3EEmmmmmmmmm
; %bb.0:
	s_load_dwordx4 s[24:27], s[0:1], 0x18
	s_load_dwordx2 s[6:7], s[0:1], 0x2c
	s_mov_b32 s5, 0
	v_mov_b64_e32 v[2:3], s[4:5]
	s_waitcnt lgkmcnt(0)
	s_mul_i32 s8, s27, s7
	s_mul_hi_u32 s9, s26, s7
	s_add_i32 s39, s9, s8
	s_mul_i32 s38, s26, s7
	v_cmp_le_i64_e32 vcc, s[38:39], v[2:3]
	s_cbranch_vccnz .LBB25_6
; %bb.1:
	s_load_dwordx4 s[28:31], s[0:1], 0x0
	s_load_dwordx2 s[40:41], s[0:1], 0x10
	s_load_dwordx2 s[26:27], s[0:1], 0x78
	;; [unrolled: 1-line block ×3, first 2 shown]
	s_load_dword s33, s[0:1], 0x28
	s_load_dwordx16 s[8:23], s[0:1], 0x38
	s_add_u32 s36, s0, 0x80
	s_addc_u32 s37, s1, 0
	s_waitcnt lgkmcnt(0)
	s_and_b32 s35, s35, 0xffff
	s_mul_i32 s3, s3, s35
	v_add_lshl_u32 v0, s3, v0, 1
	s_ashr_i32 s3, s2, 31
	s_mul_hi_u32 s42, s20, s2
	s_mul_i32 s43, s20, s3
	s_add_i32 s42, s42, s43
	s_mul_i32 s21, s21, s2
	s_add_i32 s21, s42, s21
	s_mul_i32 s20, s20, s2
	s_lshl_b64 s[20:21], s[20:21], 2
	s_add_u32 s42, s30, s20
	s_mul_hi_u32 s20, s8, s2
	s_mul_i32 s3, s8, s3
	s_addc_u32 s43, s31, s21
	s_add_i32 s3, s20, s3
	s_mul_i32 s9, s9, s2
	s_add_i32 s3, s3, s9
	s_mul_i32 s2, s8, s2
	s_lshl_b64 s[2:3], s[2:3], 1
	v_mov_b32_e32 v1, 0
	s_add_u32 s44, s40, s2
	v_mov_b64_e32 v[2:3], v[0:1]
	v_cmp_gt_i64_e64 s[0:1], s[24:25], v[0:1]
	s_addc_u32 s45, s41, s3
	v_lshlrev_b64 v[4:5], 27, v[0:1]
	s_movk_i32 s46, 0xffe0
	v_mov_b64_e32 v[6:7], s[38:39]
	s_mov_b64 s[2:3], s[4:5]
	s_branch .LBB25_3
.LBB25_2:                               ;   in Loop: Header=BB25_3 Depth=1
	s_or_b64 exec, exec, s[8:9]
	s_add_u32 s2, s2, s34
	s_addc_u32 s3, s3, 0
	v_cmp_ge_i64_e32 vcc, s[2:3], v[6:7]
	s_cbranch_vccnz .LBB25_6
.LBB25_3:                               ; =>This Loop Header: Depth=1
                                        ;     Child Loop BB25_5 Depth 2
	s_and_saveexec_b64 s[8:9], s[0:1]
	s_cbranch_execz .LBB25_2
; %bb.4:                                ;   in Loop: Header=BB25_3 Depth=1
	s_mul_hi_u32 s4, s2, s33
	s_add_i32 s4, s4, s2
	s_lshr_b32 s4, s4, s6
	s_mul_i32 s20, s4, s7
	s_sub_i32 s38, s2, s20
	s_ashr_i32 s39, s4, 31
	s_mul_i32 s20, s22, s39
	s_mul_hi_u32 s21, s22, s4
	s_ashr_i32 s40, s38, 31
	s_add_i32 s20, s21, s20
	s_mul_i32 s21, s23, s4
	s_mul_i32 s30, s26, s40
	s_mul_hi_u32 s31, s26, s38
	s_add_i32 s21, s20, s21
	s_mul_i32 s20, s22, s4
	s_add_i32 s30, s31, s30
	s_mul_i32 s31, s27, s38
	s_add_i32 s31, s30, s31
	s_lshl_b64 s[20:21], s[20:21], 2
	s_mul_i32 s30, s26, s38
	s_add_u32 s41, s42, s20
	s_addc_u32 s47, s43, s21
	s_lshl_b64 s[20:21], s[30:31], 2
	s_add_u32 s20, s41, s20
	s_addc_u32 s21, s47, s21
	s_load_dword s30, s[20:21], 0x0
	s_mul_i32 s20, s10, s39
	s_mul_hi_u32 s21, s10, s4
	s_add_i32 s20, s21, s20
	s_mul_i32 s21, s11, s4
	s_add_i32 s21, s20, s21
	s_mul_i32 s20, s10, s4
	s_waitcnt lgkmcnt(0)
	s_ashr_i32 s31, s30, 31
	s_lshl_b64 s[20:21], s[20:21], 1
	s_add_u32 s41, s44, s20
	s_addc_u32 s47, s45, s21
	s_mul_i32 s20, s12, s40
	s_mul_hi_u32 s21, s12, s38
	s_add_i32 s20, s21, s20
	s_mul_i32 s21, s13, s38
	s_add_i32 s21, s20, s21
	s_mul_i32 s20, s12, s38
	s_lshl_b64 s[20:21], s[20:21], 1
	s_add_u32 s20, s41, s20
	s_mul_i32 s31, s14, s31
	s_mul_hi_u32 s41, s14, s30
	s_addc_u32 s21, s47, s21
	s_add_i32 s31, s41, s31
	s_mul_i32 s41, s15, s30
	s_add_i32 s31, s31, s41
	s_mul_i32 s30, s14, s30
	s_add_u32 s30, s28, s30
	s_mul_i32 s39, s16, s39
	s_mul_hi_u32 s41, s16, s4
	s_addc_u32 s31, s29, s31
	s_add_i32 s39, s41, s39
	s_mul_i32 s41, s17, s4
	s_add_i32 s39, s39, s41
	s_mul_i32 s4, s16, s4
	s_add_u32 s4, s30, s4
	s_mul_i32 s30, s18, s40
	s_load_dword s40, s[36:37], 0x4
	s_addc_u32 s31, s31, s39
	s_mul_hi_u32 s39, s18, s38
	s_add_i32 s30, s39, s30
	s_mul_i32 s39, s19, s38
	s_add_i32 s39, s30, s39
	s_mul_i32 s30, s18, s38
	s_add_u32 s30, s4, s30
	s_waitcnt lgkmcnt(0)
	s_mul_i32 s4, s40, s35
	s_addc_u32 s31, s31, s39
	s_lshl_b64 s[38:39], s[4:5], 27
	s_mov_b64 s[40:41], 0
	v_mov_b64_e32 v[8:9], v[4:5]
	v_mov_b64_e32 v[10:11], v[2:3]
.LBB25_5:                               ;   Parent Loop BB25_3 Depth=1
                                        ; =>  This Inner Loop Header: Depth=2
	v_bfe_u32 v0, v10, 1, 4
	v_mad_i64_i32 v[12:13], s[48:49], v9, 18, s[30:31]
	v_lshl_add_u64 v[14:15], v[12:13], 0, v[0:1]
	global_load_ushort v16, v[12:13], off
	global_load_ubyte v17, v[14:15], off offset:2
	v_and_or_b32 v12, v10, s46, v0
	v_lshl_add_u64 v[10:11], v[10:11], 0, s[4:5]
	v_ashrrev_i32_e32 v13, 31, v12
	v_cmp_le_i64_e32 vcc, s[24:25], v[10:11]
	v_lshl_add_u64 v[8:9], v[8:9], 0, s[38:39]
	v_lshl_add_u64 v[12:13], v[12:13], 1, s[20:21]
	s_or_b64 s[40:41], vcc, s[40:41]
	s_waitcnt vmcnt(0)
	v_and_b32_e32 v0, 15, v17
	v_lshrrev_b32_e32 v14, 4, v17
	v_add_u32_e32 v0, -8, v0
	v_add_u32_e32 v14, -8, v14
	v_cvt_f32_i32_e32 v0, v0
	v_cvt_f32_i32_e32 v14, v14
	v_fma_mixlo_f16 v0, v16, v0, 0 op_sel_hi:[1,0,0]
	v_fma_mixlo_f16 v14, v16, v14, 0 op_sel_hi:[1,0,0]
	global_store_short v[12:13], v0, off
	global_store_short v[12:13], v14, off offset:32
	s_andn2_b64 exec, exec, s[40:41]
	s_cbranch_execnz .LBB25_5
	s_branch .LBB25_2
.LBB25_6:
	s_endpgm
	.section	.rodata,"a",@progbits
	.p2align	6, 0x0
	.amdhsa_kernel _ZL10k_get_rowsILi32ELi2EXadL_ZL15dequantize_q4_0PKvliR15HIP_vector_typeIfLj2EEEE6__halfEvS1_PKiPT2_llS2_IjLj3EEmmmmmmmmm
		.amdhsa_group_segment_fixed_size 0
		.amdhsa_private_segment_fixed_size 0
		.amdhsa_kernarg_size 384
		.amdhsa_user_sgpr_count 2
		.amdhsa_user_sgpr_dispatch_ptr 0
		.amdhsa_user_sgpr_queue_ptr 0
		.amdhsa_user_sgpr_kernarg_segment_ptr 1
		.amdhsa_user_sgpr_dispatch_id 0
		.amdhsa_user_sgpr_kernarg_preload_length 0
		.amdhsa_user_sgpr_kernarg_preload_offset 0
		.amdhsa_user_sgpr_private_segment_size 0
		.amdhsa_uses_dynamic_stack 0
		.amdhsa_enable_private_segment 0
		.amdhsa_system_sgpr_workgroup_id_x 1
		.amdhsa_system_sgpr_workgroup_id_y 1
		.amdhsa_system_sgpr_workgroup_id_z 1
		.amdhsa_system_sgpr_workgroup_info 0
		.amdhsa_system_vgpr_workitem_id 0
		.amdhsa_next_free_vgpr 18
		.amdhsa_next_free_sgpr 50
		.amdhsa_accum_offset 20
		.amdhsa_reserve_vcc 1
		.amdhsa_float_round_mode_32 0
		.amdhsa_float_round_mode_16_64 0
		.amdhsa_float_denorm_mode_32 3
		.amdhsa_float_denorm_mode_16_64 3
		.amdhsa_dx10_clamp 1
		.amdhsa_ieee_mode 1
		.amdhsa_fp16_overflow 0
		.amdhsa_tg_split 0
		.amdhsa_exception_fp_ieee_invalid_op 0
		.amdhsa_exception_fp_denorm_src 0
		.amdhsa_exception_fp_ieee_div_zero 0
		.amdhsa_exception_fp_ieee_overflow 0
		.amdhsa_exception_fp_ieee_underflow 0
		.amdhsa_exception_fp_ieee_inexact 0
		.amdhsa_exception_int_div_zero 0
	.end_amdhsa_kernel
	.section	.text._ZL10k_get_rowsILi32ELi2EXadL_ZL15dequantize_q4_0PKvliR15HIP_vector_typeIfLj2EEEE6__halfEvS1_PKiPT2_llS2_IjLj3EEmmmmmmmmm,"axG",@progbits,_ZL10k_get_rowsILi32ELi2EXadL_ZL15dequantize_q4_0PKvliR15HIP_vector_typeIfLj2EEEE6__halfEvS1_PKiPT2_llS2_IjLj3EEmmmmmmmmm,comdat
.Lfunc_end25:
	.size	_ZL10k_get_rowsILi32ELi2EXadL_ZL15dequantize_q4_0PKvliR15HIP_vector_typeIfLj2EEEE6__halfEvS1_PKiPT2_llS2_IjLj3EEmmmmmmmmm, .Lfunc_end25-_ZL10k_get_rowsILi32ELi2EXadL_ZL15dequantize_q4_0PKvliR15HIP_vector_typeIfLj2EEEE6__halfEvS1_PKiPT2_llS2_IjLj3EEmmmmmmmmm
                                        ; -- End function
	.set _ZL10k_get_rowsILi32ELi2EXadL_ZL15dequantize_q4_0PKvliR15HIP_vector_typeIfLj2EEEE6__halfEvS1_PKiPT2_llS2_IjLj3EEmmmmmmmmm.num_vgpr, 18
	.set _ZL10k_get_rowsILi32ELi2EXadL_ZL15dequantize_q4_0PKvliR15HIP_vector_typeIfLj2EEEE6__halfEvS1_PKiPT2_llS2_IjLj3EEmmmmmmmmm.num_agpr, 0
	.set _ZL10k_get_rowsILi32ELi2EXadL_ZL15dequantize_q4_0PKvliR15HIP_vector_typeIfLj2EEEE6__halfEvS1_PKiPT2_llS2_IjLj3EEmmmmmmmmm.numbered_sgpr, 50
	.set _ZL10k_get_rowsILi32ELi2EXadL_ZL15dequantize_q4_0PKvliR15HIP_vector_typeIfLj2EEEE6__halfEvS1_PKiPT2_llS2_IjLj3EEmmmmmmmmm.num_named_barrier, 0
	.set _ZL10k_get_rowsILi32ELi2EXadL_ZL15dequantize_q4_0PKvliR15HIP_vector_typeIfLj2EEEE6__halfEvS1_PKiPT2_llS2_IjLj3EEmmmmmmmmm.private_seg_size, 0
	.set _ZL10k_get_rowsILi32ELi2EXadL_ZL15dequantize_q4_0PKvliR15HIP_vector_typeIfLj2EEEE6__halfEvS1_PKiPT2_llS2_IjLj3EEmmmmmmmmm.uses_vcc, 1
	.set _ZL10k_get_rowsILi32ELi2EXadL_ZL15dequantize_q4_0PKvliR15HIP_vector_typeIfLj2EEEE6__halfEvS1_PKiPT2_llS2_IjLj3EEmmmmmmmmm.uses_flat_scratch, 0
	.set _ZL10k_get_rowsILi32ELi2EXadL_ZL15dequantize_q4_0PKvliR15HIP_vector_typeIfLj2EEEE6__halfEvS1_PKiPT2_llS2_IjLj3EEmmmmmmmmm.has_dyn_sized_stack, 0
	.set _ZL10k_get_rowsILi32ELi2EXadL_ZL15dequantize_q4_0PKvliR15HIP_vector_typeIfLj2EEEE6__halfEvS1_PKiPT2_llS2_IjLj3EEmmmmmmmmm.has_recursion, 0
	.set _ZL10k_get_rowsILi32ELi2EXadL_ZL15dequantize_q4_0PKvliR15HIP_vector_typeIfLj2EEEE6__halfEvS1_PKiPT2_llS2_IjLj3EEmmmmmmmmm.has_indirect_call, 0
	.section	.AMDGPU.csdata,"",@progbits
; Kernel info:
; codeLenInByte = 756
; TotalNumSgprs: 56
; NumVgprs: 18
; NumAgprs: 0
; TotalNumVgprs: 18
; ScratchSize: 0
; MemoryBound: 0
; FloatMode: 240
; IeeeMode: 1
; LDSByteSize: 0 bytes/workgroup (compile time only)
; SGPRBlocks: 6
; VGPRBlocks: 2
; NumSGPRsForWavesPerEU: 56
; NumVGPRsForWavesPerEU: 18
; AccumOffset: 20
; Occupancy: 8
; WaveLimiterHint : 1
; COMPUTE_PGM_RSRC2:SCRATCH_EN: 0
; COMPUTE_PGM_RSRC2:USER_SGPR: 2
; COMPUTE_PGM_RSRC2:TRAP_HANDLER: 0
; COMPUTE_PGM_RSRC2:TGID_X_EN: 1
; COMPUTE_PGM_RSRC2:TGID_Y_EN: 1
; COMPUTE_PGM_RSRC2:TGID_Z_EN: 1
; COMPUTE_PGM_RSRC2:TIDIG_COMP_CNT: 0
; COMPUTE_PGM_RSRC3_GFX90A:ACCUM_OFFSET: 4
; COMPUTE_PGM_RSRC3_GFX90A:TG_SPLIT: 0
	.section	.text._ZL10k_get_rowsILi32ELi2EXadL_ZL15dequantize_q4_1PKvliR15HIP_vector_typeIfLj2EEEE6__halfEvS1_PKiPT2_llS2_IjLj3EEmmmmmmmmm,"axG",@progbits,_ZL10k_get_rowsILi32ELi2EXadL_ZL15dequantize_q4_1PKvliR15HIP_vector_typeIfLj2EEEE6__halfEvS1_PKiPT2_llS2_IjLj3EEmmmmmmmmm,comdat
	.globl	_ZL10k_get_rowsILi32ELi2EXadL_ZL15dequantize_q4_1PKvliR15HIP_vector_typeIfLj2EEEE6__halfEvS1_PKiPT2_llS2_IjLj3EEmmmmmmmmm ; -- Begin function _ZL10k_get_rowsILi32ELi2EXadL_ZL15dequantize_q4_1PKvliR15HIP_vector_typeIfLj2EEEE6__halfEvS1_PKiPT2_llS2_IjLj3EEmmmmmmmmm
	.p2align	8
	.type	_ZL10k_get_rowsILi32ELi2EXadL_ZL15dequantize_q4_1PKvliR15HIP_vector_typeIfLj2EEEE6__halfEvS1_PKiPT2_llS2_IjLj3EEmmmmmmmmm,@function
_ZL10k_get_rowsILi32ELi2EXadL_ZL15dequantize_q4_1PKvliR15HIP_vector_typeIfLj2EEEE6__halfEvS1_PKiPT2_llS2_IjLj3EEmmmmmmmmm: ; @_ZL10k_get_rowsILi32ELi2EXadL_ZL15dequantize_q4_1PKvliR15HIP_vector_typeIfLj2EEEE6__halfEvS1_PKiPT2_llS2_IjLj3EEmmmmmmmmm
; %bb.0:
	s_load_dwordx4 s[24:27], s[0:1], 0x18
	s_load_dwordx2 s[6:7], s[0:1], 0x2c
	s_mov_b32 s5, 0
	v_mov_b64_e32 v[2:3], s[4:5]
	s_waitcnt lgkmcnt(0)
	s_mul_i32 s8, s27, s7
	s_mul_hi_u32 s9, s26, s7
	s_add_i32 s39, s9, s8
	s_mul_i32 s38, s26, s7
	v_cmp_le_i64_e32 vcc, s[38:39], v[2:3]
	s_cbranch_vccnz .LBB26_6
; %bb.1:
	s_load_dwordx4 s[28:31], s[0:1], 0x0
	s_load_dwordx2 s[40:41], s[0:1], 0x10
	s_load_dwordx2 s[26:27], s[0:1], 0x78
	;; [unrolled: 1-line block ×3, first 2 shown]
	s_load_dword s33, s[0:1], 0x28
	s_load_dwordx16 s[8:23], s[0:1], 0x38
	s_add_u32 s36, s0, 0x80
	s_addc_u32 s37, s1, 0
	s_waitcnt lgkmcnt(0)
	s_and_b32 s35, s35, 0xffff
	s_mul_i32 s3, s3, s35
	v_add_lshl_u32 v0, s3, v0, 1
	s_ashr_i32 s3, s2, 31
	s_mul_hi_u32 s42, s20, s2
	s_mul_i32 s43, s20, s3
	s_add_i32 s42, s42, s43
	s_mul_i32 s21, s21, s2
	s_add_i32 s21, s42, s21
	s_mul_i32 s20, s20, s2
	s_lshl_b64 s[20:21], s[20:21], 2
	s_add_u32 s42, s30, s20
	s_mul_hi_u32 s20, s8, s2
	s_mul_i32 s3, s8, s3
	s_addc_u32 s43, s31, s21
	s_add_i32 s3, s20, s3
	s_mul_i32 s9, s9, s2
	s_add_i32 s3, s3, s9
	s_mul_i32 s2, s8, s2
	s_lshl_b64 s[2:3], s[2:3], 1
	v_mov_b32_e32 v1, 0
	s_add_u32 s44, s40, s2
	v_mov_b64_e32 v[2:3], v[0:1]
	v_cmp_gt_i64_e64 s[0:1], s[24:25], v[0:1]
	s_addc_u32 s45, s41, s3
	v_lshlrev_b64 v[4:5], 27, v[0:1]
	s_movk_i32 s46, 0xffe0
	v_mov_b64_e32 v[6:7], s[38:39]
	s_mov_b64 s[2:3], s[4:5]
	s_branch .LBB26_3
.LBB26_2:                               ;   in Loop: Header=BB26_3 Depth=1
	s_or_b64 exec, exec, s[8:9]
	s_add_u32 s2, s2, s34
	s_addc_u32 s3, s3, 0
	v_cmp_ge_i64_e32 vcc, s[2:3], v[6:7]
	s_cbranch_vccnz .LBB26_6
.LBB26_3:                               ; =>This Loop Header: Depth=1
                                        ;     Child Loop BB26_5 Depth 2
	s_and_saveexec_b64 s[8:9], s[0:1]
	s_cbranch_execz .LBB26_2
; %bb.4:                                ;   in Loop: Header=BB26_3 Depth=1
	s_mul_hi_u32 s4, s2, s33
	s_add_i32 s4, s4, s2
	s_lshr_b32 s4, s4, s6
	s_mul_i32 s20, s4, s7
	s_sub_i32 s38, s2, s20
	s_ashr_i32 s39, s4, 31
	s_mul_i32 s20, s22, s39
	s_mul_hi_u32 s21, s22, s4
	s_ashr_i32 s40, s38, 31
	s_add_i32 s20, s21, s20
	s_mul_i32 s21, s23, s4
	s_mul_i32 s30, s26, s40
	s_mul_hi_u32 s31, s26, s38
	s_add_i32 s21, s20, s21
	s_mul_i32 s20, s22, s4
	s_add_i32 s30, s31, s30
	s_mul_i32 s31, s27, s38
	s_add_i32 s31, s30, s31
	s_lshl_b64 s[20:21], s[20:21], 2
	s_mul_i32 s30, s26, s38
	s_add_u32 s41, s42, s20
	s_addc_u32 s47, s43, s21
	s_lshl_b64 s[20:21], s[30:31], 2
	s_add_u32 s20, s41, s20
	s_addc_u32 s21, s47, s21
	s_load_dword s30, s[20:21], 0x0
	s_mul_i32 s20, s10, s39
	s_mul_hi_u32 s21, s10, s4
	s_add_i32 s20, s21, s20
	s_mul_i32 s21, s11, s4
	s_add_i32 s21, s20, s21
	s_mul_i32 s20, s10, s4
	s_waitcnt lgkmcnt(0)
	s_ashr_i32 s31, s30, 31
	s_lshl_b64 s[20:21], s[20:21], 1
	s_add_u32 s41, s44, s20
	s_addc_u32 s47, s45, s21
	s_mul_i32 s20, s12, s40
	s_mul_hi_u32 s21, s12, s38
	s_add_i32 s20, s21, s20
	s_mul_i32 s21, s13, s38
	s_add_i32 s21, s20, s21
	s_mul_i32 s20, s12, s38
	s_lshl_b64 s[20:21], s[20:21], 1
	s_add_u32 s20, s41, s20
	s_mul_i32 s31, s14, s31
	s_mul_hi_u32 s41, s14, s30
	s_addc_u32 s21, s47, s21
	s_add_i32 s31, s41, s31
	s_mul_i32 s41, s15, s30
	s_add_i32 s31, s31, s41
	s_mul_i32 s30, s14, s30
	s_add_u32 s30, s28, s30
	s_mul_i32 s39, s16, s39
	s_mul_hi_u32 s41, s16, s4
	s_addc_u32 s31, s29, s31
	s_add_i32 s39, s41, s39
	s_mul_i32 s41, s17, s4
	s_add_i32 s39, s39, s41
	s_mul_i32 s4, s16, s4
	s_add_u32 s4, s30, s4
	s_mul_i32 s30, s18, s40
	s_load_dword s40, s[36:37], 0x4
	s_addc_u32 s31, s31, s39
	s_mul_hi_u32 s39, s18, s38
	s_add_i32 s30, s39, s30
	s_mul_i32 s39, s19, s38
	s_add_i32 s39, s30, s39
	s_mul_i32 s30, s18, s38
	s_add_u32 s30, s4, s30
	s_waitcnt lgkmcnt(0)
	s_mul_i32 s4, s40, s35
	s_addc_u32 s31, s31, s39
	s_lshl_b64 s[38:39], s[4:5], 27
	s_mov_b64 s[40:41], 0
	v_mov_b64_e32 v[8:9], v[4:5]
	v_mov_b64_e32 v[10:11], v[2:3]
.LBB26_5:                               ;   Parent Loop BB26_3 Depth=1
                                        ; =>  This Inner Loop Header: Depth=2
	v_bfe_u32 v0, v10, 1, 4
	v_mad_i64_i32 v[12:13], s[48:49], v9, 20, s[30:31]
	v_lshl_add_u64 v[14:15], v[12:13], 0, v[0:1]
	global_load_dword v16, v[12:13], off
	global_load_ubyte v17, v[14:15], off offset:4
	v_and_or_b32 v12, v10, s46, v0
	v_lshl_add_u64 v[10:11], v[10:11], 0, s[4:5]
	v_ashrrev_i32_e32 v13, 31, v12
	v_cmp_le_i64_e32 vcc, s[24:25], v[10:11]
	v_lshl_add_u64 v[8:9], v[8:9], 0, s[38:39]
	v_lshl_add_u64 v[12:13], v[12:13], 1, s[20:21]
	s_or_b64 s[40:41], vcc, s[40:41]
	s_waitcnt vmcnt(0)
	v_and_b32_e32 v0, 15, v17
	v_lshrrev_b32_e32 v14, 4, v17
	v_cvt_f32_ubyte0_e32 v0, v0
	v_cvt_f32_ubyte0_e32 v14, v14
	v_fma_mixlo_f16 v0, v16, v0, v16 op_sel:[0,0,1] op_sel_hi:[1,0,1]
	v_fma_mixlo_f16 v14, v16, v14, v16 op_sel:[0,0,1] op_sel_hi:[1,0,1]
	global_store_short v[12:13], v0, off
	global_store_short v[12:13], v14, off offset:32
	s_andn2_b64 exec, exec, s[40:41]
	s_cbranch_execnz .LBB26_5
	s_branch .LBB26_2
.LBB26_6:
	s_endpgm
	.section	.rodata,"a",@progbits
	.p2align	6, 0x0
	.amdhsa_kernel _ZL10k_get_rowsILi32ELi2EXadL_ZL15dequantize_q4_1PKvliR15HIP_vector_typeIfLj2EEEE6__halfEvS1_PKiPT2_llS2_IjLj3EEmmmmmmmmm
		.amdhsa_group_segment_fixed_size 0
		.amdhsa_private_segment_fixed_size 0
		.amdhsa_kernarg_size 384
		.amdhsa_user_sgpr_count 2
		.amdhsa_user_sgpr_dispatch_ptr 0
		.amdhsa_user_sgpr_queue_ptr 0
		.amdhsa_user_sgpr_kernarg_segment_ptr 1
		.amdhsa_user_sgpr_dispatch_id 0
		.amdhsa_user_sgpr_kernarg_preload_length 0
		.amdhsa_user_sgpr_kernarg_preload_offset 0
		.amdhsa_user_sgpr_private_segment_size 0
		.amdhsa_uses_dynamic_stack 0
		.amdhsa_enable_private_segment 0
		.amdhsa_system_sgpr_workgroup_id_x 1
		.amdhsa_system_sgpr_workgroup_id_y 1
		.amdhsa_system_sgpr_workgroup_id_z 1
		.amdhsa_system_sgpr_workgroup_info 0
		.amdhsa_system_vgpr_workitem_id 0
		.amdhsa_next_free_vgpr 18
		.amdhsa_next_free_sgpr 50
		.amdhsa_accum_offset 20
		.amdhsa_reserve_vcc 1
		.amdhsa_float_round_mode_32 0
		.amdhsa_float_round_mode_16_64 0
		.amdhsa_float_denorm_mode_32 3
		.amdhsa_float_denorm_mode_16_64 3
		.amdhsa_dx10_clamp 1
		.amdhsa_ieee_mode 1
		.amdhsa_fp16_overflow 0
		.amdhsa_tg_split 0
		.amdhsa_exception_fp_ieee_invalid_op 0
		.amdhsa_exception_fp_denorm_src 0
		.amdhsa_exception_fp_ieee_div_zero 0
		.amdhsa_exception_fp_ieee_overflow 0
		.amdhsa_exception_fp_ieee_underflow 0
		.amdhsa_exception_fp_ieee_inexact 0
		.amdhsa_exception_int_div_zero 0
	.end_amdhsa_kernel
	.section	.text._ZL10k_get_rowsILi32ELi2EXadL_ZL15dequantize_q4_1PKvliR15HIP_vector_typeIfLj2EEEE6__halfEvS1_PKiPT2_llS2_IjLj3EEmmmmmmmmm,"axG",@progbits,_ZL10k_get_rowsILi32ELi2EXadL_ZL15dequantize_q4_1PKvliR15HIP_vector_typeIfLj2EEEE6__halfEvS1_PKiPT2_llS2_IjLj3EEmmmmmmmmm,comdat
.Lfunc_end26:
	.size	_ZL10k_get_rowsILi32ELi2EXadL_ZL15dequantize_q4_1PKvliR15HIP_vector_typeIfLj2EEEE6__halfEvS1_PKiPT2_llS2_IjLj3EEmmmmmmmmm, .Lfunc_end26-_ZL10k_get_rowsILi32ELi2EXadL_ZL15dequantize_q4_1PKvliR15HIP_vector_typeIfLj2EEEE6__halfEvS1_PKiPT2_llS2_IjLj3EEmmmmmmmmm
                                        ; -- End function
	.set _ZL10k_get_rowsILi32ELi2EXadL_ZL15dequantize_q4_1PKvliR15HIP_vector_typeIfLj2EEEE6__halfEvS1_PKiPT2_llS2_IjLj3EEmmmmmmmmm.num_vgpr, 18
	.set _ZL10k_get_rowsILi32ELi2EXadL_ZL15dequantize_q4_1PKvliR15HIP_vector_typeIfLj2EEEE6__halfEvS1_PKiPT2_llS2_IjLj3EEmmmmmmmmm.num_agpr, 0
	.set _ZL10k_get_rowsILi32ELi2EXadL_ZL15dequantize_q4_1PKvliR15HIP_vector_typeIfLj2EEEE6__halfEvS1_PKiPT2_llS2_IjLj3EEmmmmmmmmm.numbered_sgpr, 50
	.set _ZL10k_get_rowsILi32ELi2EXadL_ZL15dequantize_q4_1PKvliR15HIP_vector_typeIfLj2EEEE6__halfEvS1_PKiPT2_llS2_IjLj3EEmmmmmmmmm.num_named_barrier, 0
	.set _ZL10k_get_rowsILi32ELi2EXadL_ZL15dequantize_q4_1PKvliR15HIP_vector_typeIfLj2EEEE6__halfEvS1_PKiPT2_llS2_IjLj3EEmmmmmmmmm.private_seg_size, 0
	.set _ZL10k_get_rowsILi32ELi2EXadL_ZL15dequantize_q4_1PKvliR15HIP_vector_typeIfLj2EEEE6__halfEvS1_PKiPT2_llS2_IjLj3EEmmmmmmmmm.uses_vcc, 1
	.set _ZL10k_get_rowsILi32ELi2EXadL_ZL15dequantize_q4_1PKvliR15HIP_vector_typeIfLj2EEEE6__halfEvS1_PKiPT2_llS2_IjLj3EEmmmmmmmmm.uses_flat_scratch, 0
	.set _ZL10k_get_rowsILi32ELi2EXadL_ZL15dequantize_q4_1PKvliR15HIP_vector_typeIfLj2EEEE6__halfEvS1_PKiPT2_llS2_IjLj3EEmmmmmmmmm.has_dyn_sized_stack, 0
	.set _ZL10k_get_rowsILi32ELi2EXadL_ZL15dequantize_q4_1PKvliR15HIP_vector_typeIfLj2EEEE6__halfEvS1_PKiPT2_llS2_IjLj3EEmmmmmmmmm.has_recursion, 0
	.set _ZL10k_get_rowsILi32ELi2EXadL_ZL15dequantize_q4_1PKvliR15HIP_vector_typeIfLj2EEEE6__halfEvS1_PKiPT2_llS2_IjLj3EEmmmmmmmmm.has_indirect_call, 0
	.section	.AMDGPU.csdata,"",@progbits
; Kernel info:
; codeLenInByte = 748
; TotalNumSgprs: 56
; NumVgprs: 18
; NumAgprs: 0
; TotalNumVgprs: 18
; ScratchSize: 0
; MemoryBound: 0
; FloatMode: 240
; IeeeMode: 1
; LDSByteSize: 0 bytes/workgroup (compile time only)
; SGPRBlocks: 6
; VGPRBlocks: 2
; NumSGPRsForWavesPerEU: 56
; NumVGPRsForWavesPerEU: 18
; AccumOffset: 20
; Occupancy: 8
; WaveLimiterHint : 1
; COMPUTE_PGM_RSRC2:SCRATCH_EN: 0
; COMPUTE_PGM_RSRC2:USER_SGPR: 2
; COMPUTE_PGM_RSRC2:TRAP_HANDLER: 0
; COMPUTE_PGM_RSRC2:TGID_X_EN: 1
; COMPUTE_PGM_RSRC2:TGID_Y_EN: 1
; COMPUTE_PGM_RSRC2:TGID_Z_EN: 1
; COMPUTE_PGM_RSRC2:TIDIG_COMP_CNT: 0
; COMPUTE_PGM_RSRC3_GFX90A:ACCUM_OFFSET: 4
; COMPUTE_PGM_RSRC3_GFX90A:TG_SPLIT: 0
	.section	.text._ZL10k_get_rowsILi32ELi2EXadL_ZL15dequantize_q5_0PKvliR15HIP_vector_typeIfLj2EEEE6__halfEvS1_PKiPT2_llS2_IjLj3EEmmmmmmmmm,"axG",@progbits,_ZL10k_get_rowsILi32ELi2EXadL_ZL15dequantize_q5_0PKvliR15HIP_vector_typeIfLj2EEEE6__halfEvS1_PKiPT2_llS2_IjLj3EEmmmmmmmmm,comdat
	.globl	_ZL10k_get_rowsILi32ELi2EXadL_ZL15dequantize_q5_0PKvliR15HIP_vector_typeIfLj2EEEE6__halfEvS1_PKiPT2_llS2_IjLj3EEmmmmmmmmm ; -- Begin function _ZL10k_get_rowsILi32ELi2EXadL_ZL15dequantize_q5_0PKvliR15HIP_vector_typeIfLj2EEEE6__halfEvS1_PKiPT2_llS2_IjLj3EEmmmmmmmmm
	.p2align	8
	.type	_ZL10k_get_rowsILi32ELi2EXadL_ZL15dequantize_q5_0PKvliR15HIP_vector_typeIfLj2EEEE6__halfEvS1_PKiPT2_llS2_IjLj3EEmmmmmmmmm,@function
_ZL10k_get_rowsILi32ELi2EXadL_ZL15dequantize_q5_0PKvliR15HIP_vector_typeIfLj2EEEE6__halfEvS1_PKiPT2_llS2_IjLj3EEmmmmmmmmm: ; @_ZL10k_get_rowsILi32ELi2EXadL_ZL15dequantize_q5_0PKvliR15HIP_vector_typeIfLj2EEEE6__halfEvS1_PKiPT2_llS2_IjLj3EEmmmmmmmmm
; %bb.0:
	s_load_dwordx4 s[24:27], s[0:1], 0x18
	s_load_dwordx2 s[6:7], s[0:1], 0x2c
	s_mov_b32 s5, 0
	v_mov_b64_e32 v[2:3], s[4:5]
	s_waitcnt lgkmcnt(0)
	s_mul_i32 s8, s27, s7
	s_mul_hi_u32 s9, s26, s7
	s_add_i32 s39, s9, s8
	s_mul_i32 s38, s26, s7
	v_cmp_le_i64_e32 vcc, s[38:39], v[2:3]
	s_cbranch_vccnz .LBB27_6
; %bb.1:
	s_load_dwordx4 s[28:31], s[0:1], 0x0
	s_load_dwordx2 s[40:41], s[0:1], 0x10
	s_load_dwordx2 s[26:27], s[0:1], 0x78
	s_load_dwordx2 s[34:35], s[0:1], 0x88
	s_load_dword s33, s[0:1], 0x28
	s_load_dwordx16 s[8:23], s[0:1], 0x38
	s_add_u32 s36, s0, 0x80
	s_addc_u32 s37, s1, 0
	s_waitcnt lgkmcnt(0)
	s_and_b32 s35, s35, 0xffff
	s_mul_i32 s3, s3, s35
	v_add_lshl_u32 v0, s3, v0, 1
	s_ashr_i32 s3, s2, 31
	s_mul_hi_u32 s42, s20, s2
	s_mul_i32 s43, s20, s3
	s_add_i32 s42, s42, s43
	s_mul_i32 s21, s21, s2
	s_add_i32 s21, s42, s21
	s_mul_i32 s20, s20, s2
	s_lshl_b64 s[20:21], s[20:21], 2
	s_add_u32 s42, s30, s20
	s_mul_hi_u32 s20, s8, s2
	s_mul_i32 s3, s8, s3
	s_addc_u32 s43, s31, s21
	s_add_i32 s3, s20, s3
	s_mul_i32 s9, s9, s2
	s_add_i32 s3, s3, s9
	s_mul_i32 s2, s8, s2
	s_lshl_b64 s[2:3], s[2:3], 1
	v_mov_b32_e32 v1, 0
	s_add_u32 s44, s40, s2
	v_mov_b64_e32 v[2:3], v[0:1]
	v_cmp_gt_i64_e64 s[0:1], s[24:25], v[0:1]
	s_addc_u32 s45, s41, s3
	v_lshlrev_b64 v[4:5], 27, v[0:1]
	s_mov_b32 s46, 0x1000706
	s_movk_i32 s47, 0xffe0
	v_mov_b64_e32 v[6:7], s[38:39]
	s_mov_b64 s[2:3], s[4:5]
	s_branch .LBB27_3
.LBB27_2:                               ;   in Loop: Header=BB27_3 Depth=1
	s_or_b64 exec, exec, s[8:9]
	s_add_u32 s2, s2, s34
	s_addc_u32 s3, s3, 0
	v_cmp_ge_i64_e32 vcc, s[2:3], v[6:7]
	s_cbranch_vccnz .LBB27_6
.LBB27_3:                               ; =>This Loop Header: Depth=1
                                        ;     Child Loop BB27_5 Depth 2
	s_and_saveexec_b64 s[8:9], s[0:1]
	s_cbranch_execz .LBB27_2
; %bb.4:                                ;   in Loop: Header=BB27_3 Depth=1
	s_mul_hi_u32 s4, s2, s33
	s_add_i32 s4, s4, s2
	s_lshr_b32 s4, s4, s6
	s_mul_i32 s20, s4, s7
	s_sub_i32 s38, s2, s20
	s_ashr_i32 s39, s4, 31
	s_mul_i32 s20, s22, s39
	s_mul_hi_u32 s21, s22, s4
	s_ashr_i32 s40, s38, 31
	s_add_i32 s20, s21, s20
	s_mul_i32 s21, s23, s4
	s_mul_i32 s30, s26, s40
	s_mul_hi_u32 s31, s26, s38
	s_add_i32 s21, s20, s21
	s_mul_i32 s20, s22, s4
	s_add_i32 s30, s31, s30
	s_mul_i32 s31, s27, s38
	s_add_i32 s31, s30, s31
	s_lshl_b64 s[20:21], s[20:21], 2
	s_mul_i32 s30, s26, s38
	s_add_u32 s41, s42, s20
	s_addc_u32 s48, s43, s21
	s_lshl_b64 s[20:21], s[30:31], 2
	s_add_u32 s20, s41, s20
	s_addc_u32 s21, s48, s21
	s_load_dword s30, s[20:21], 0x0
	s_mul_i32 s20, s10, s39
	s_mul_hi_u32 s21, s10, s4
	s_add_i32 s20, s21, s20
	s_mul_i32 s21, s11, s4
	s_add_i32 s21, s20, s21
	s_mul_i32 s20, s10, s4
	s_waitcnt lgkmcnt(0)
	s_ashr_i32 s31, s30, 31
	s_lshl_b64 s[20:21], s[20:21], 1
	s_add_u32 s41, s44, s20
	s_addc_u32 s48, s45, s21
	s_mul_i32 s20, s12, s40
	s_mul_hi_u32 s21, s12, s38
	s_add_i32 s20, s21, s20
	s_mul_i32 s21, s13, s38
	s_add_i32 s21, s20, s21
	s_mul_i32 s20, s12, s38
	s_lshl_b64 s[20:21], s[20:21], 1
	s_add_u32 s20, s41, s20
	s_mul_i32 s31, s14, s31
	s_mul_hi_u32 s41, s14, s30
	s_addc_u32 s21, s48, s21
	s_add_i32 s31, s41, s31
	s_mul_i32 s41, s15, s30
	s_add_i32 s31, s31, s41
	s_mul_i32 s30, s14, s30
	s_add_u32 s30, s28, s30
	s_mul_i32 s39, s16, s39
	s_mul_hi_u32 s41, s16, s4
	s_addc_u32 s31, s29, s31
	s_add_i32 s39, s41, s39
	s_mul_i32 s41, s17, s4
	s_add_i32 s39, s39, s41
	s_mul_i32 s4, s16, s4
	s_add_u32 s4, s30, s4
	s_mul_i32 s30, s18, s40
	s_load_dword s40, s[36:37], 0x4
	s_addc_u32 s31, s31, s39
	s_mul_hi_u32 s39, s18, s38
	s_add_i32 s30, s39, s30
	s_mul_i32 s39, s19, s38
	s_add_i32 s39, s30, s39
	s_mul_i32 s30, s18, s38
	s_add_u32 s30, s4, s30
	s_waitcnt lgkmcnt(0)
	s_mul_i32 s4, s40, s35
	s_addc_u32 s31, s31, s39
	s_lshl_b64 s[38:39], s[4:5], 27
	s_mov_b64 s[40:41], 0
	v_mov_b64_e32 v[8:9], v[4:5]
	v_mov_b64_e32 v[10:11], v[2:3]
.LBB27_5:                               ;   Parent Loop BB27_3 Depth=1
                                        ; =>  This Inner Loop Header: Depth=2
	v_bfe_u32 v0, v10, 1, 4
	v_mad_i64_i32 v[12:13], s[48:49], v9, 22, s[30:31]
	global_load_dword v14, v[12:13], off
	global_load_ushort v15, v[12:13], off offset:4
	v_lshl_add_u64 v[12:13], v[12:13], 0, v[0:1]
	global_load_ubyte v16, v[12:13], off offset:6
	v_add_u32_e32 v17, 12, v0
	v_and_or_b32 v12, v10, s47, v0
	v_lshl_add_u64 v[10:11], v[10:11], 0, s[4:5]
	v_ashrrev_i32_e32 v13, 31, v12
	v_cmp_le_i64_e32 vcc, s[24:25], v[10:11]
	v_lshl_add_u64 v[8:9], v[8:9], 0, s[38:39]
	v_lshl_add_u64 v[12:13], v[12:13], 1, s[20:21]
	s_or_b64 s[40:41], vcc, s[40:41]
	s_waitcnt vmcnt(1)
	v_perm_b32 v15, v14, v15, s46
	v_lshrrev_b32_e32 v0, v0, v15
	v_lshrrev_b32_e32 v15, v17, v15
	s_waitcnt vmcnt(0)
	v_lshrrev_b16_e32 v17, 4, v16
	v_lshlrev_b32_e32 v0, 4, v0
	v_and_b32_e32 v15, 16, v15
	v_or_b32_e32 v17, -16, v17
	v_or_b32_e32 v16, -16, v16
	v_and_b32_e32 v0, 16, v0
	v_add_u32_sdwa v15, v15, sext(v17) dst_sel:DWORD dst_unused:UNUSED_PAD src0_sel:DWORD src1_sel:WORD_0
	v_add_u32_e32 v0, v16, v0
	v_cvt_f32_i32_e32 v15, v15
	v_cvt_f32_i32_e32 v0, v0
	v_fma_mixlo_f16 v15, v14, v15, 0 op_sel_hi:[1,0,0]
	v_fma_mixlo_f16 v0, v14, v0, 0 op_sel_hi:[1,0,0]
	global_store_short v[12:13], v15, off offset:32
	global_store_short v[12:13], v0, off
	s_andn2_b64 exec, exec, s[40:41]
	s_cbranch_execnz .LBB27_5
	s_branch .LBB27_2
.LBB27_6:
	s_endpgm
	.section	.rodata,"a",@progbits
	.p2align	6, 0x0
	.amdhsa_kernel _ZL10k_get_rowsILi32ELi2EXadL_ZL15dequantize_q5_0PKvliR15HIP_vector_typeIfLj2EEEE6__halfEvS1_PKiPT2_llS2_IjLj3EEmmmmmmmmm
		.amdhsa_group_segment_fixed_size 0
		.amdhsa_private_segment_fixed_size 0
		.amdhsa_kernarg_size 384
		.amdhsa_user_sgpr_count 2
		.amdhsa_user_sgpr_dispatch_ptr 0
		.amdhsa_user_sgpr_queue_ptr 0
		.amdhsa_user_sgpr_kernarg_segment_ptr 1
		.amdhsa_user_sgpr_dispatch_id 0
		.amdhsa_user_sgpr_kernarg_preload_length 0
		.amdhsa_user_sgpr_kernarg_preload_offset 0
		.amdhsa_user_sgpr_private_segment_size 0
		.amdhsa_uses_dynamic_stack 0
		.amdhsa_enable_private_segment 0
		.amdhsa_system_sgpr_workgroup_id_x 1
		.amdhsa_system_sgpr_workgroup_id_y 1
		.amdhsa_system_sgpr_workgroup_id_z 1
		.amdhsa_system_sgpr_workgroup_info 0
		.amdhsa_system_vgpr_workitem_id 0
		.amdhsa_next_free_vgpr 18
		.amdhsa_next_free_sgpr 50
		.amdhsa_accum_offset 20
		.amdhsa_reserve_vcc 1
		.amdhsa_float_round_mode_32 0
		.amdhsa_float_round_mode_16_64 0
		.amdhsa_float_denorm_mode_32 3
		.amdhsa_float_denorm_mode_16_64 3
		.amdhsa_dx10_clamp 1
		.amdhsa_ieee_mode 1
		.amdhsa_fp16_overflow 0
		.amdhsa_tg_split 0
		.amdhsa_exception_fp_ieee_invalid_op 0
		.amdhsa_exception_fp_denorm_src 0
		.amdhsa_exception_fp_ieee_div_zero 0
		.amdhsa_exception_fp_ieee_overflow 0
		.amdhsa_exception_fp_ieee_underflow 0
		.amdhsa_exception_fp_ieee_inexact 0
		.amdhsa_exception_int_div_zero 0
	.end_amdhsa_kernel
	.section	.text._ZL10k_get_rowsILi32ELi2EXadL_ZL15dequantize_q5_0PKvliR15HIP_vector_typeIfLj2EEEE6__halfEvS1_PKiPT2_llS2_IjLj3EEmmmmmmmmm,"axG",@progbits,_ZL10k_get_rowsILi32ELi2EXadL_ZL15dequantize_q5_0PKvliR15HIP_vector_typeIfLj2EEEE6__halfEvS1_PKiPT2_llS2_IjLj3EEmmmmmmmmm,comdat
.Lfunc_end27:
	.size	_ZL10k_get_rowsILi32ELi2EXadL_ZL15dequantize_q5_0PKvliR15HIP_vector_typeIfLj2EEEE6__halfEvS1_PKiPT2_llS2_IjLj3EEmmmmmmmmm, .Lfunc_end27-_ZL10k_get_rowsILi32ELi2EXadL_ZL15dequantize_q5_0PKvliR15HIP_vector_typeIfLj2EEEE6__halfEvS1_PKiPT2_llS2_IjLj3EEmmmmmmmmm
                                        ; -- End function
	.set _ZL10k_get_rowsILi32ELi2EXadL_ZL15dequantize_q5_0PKvliR15HIP_vector_typeIfLj2EEEE6__halfEvS1_PKiPT2_llS2_IjLj3EEmmmmmmmmm.num_vgpr, 18
	.set _ZL10k_get_rowsILi32ELi2EXadL_ZL15dequantize_q5_0PKvliR15HIP_vector_typeIfLj2EEEE6__halfEvS1_PKiPT2_llS2_IjLj3EEmmmmmmmmm.num_agpr, 0
	.set _ZL10k_get_rowsILi32ELi2EXadL_ZL15dequantize_q5_0PKvliR15HIP_vector_typeIfLj2EEEE6__halfEvS1_PKiPT2_llS2_IjLj3EEmmmmmmmmm.numbered_sgpr, 50
	.set _ZL10k_get_rowsILi32ELi2EXadL_ZL15dequantize_q5_0PKvliR15HIP_vector_typeIfLj2EEEE6__halfEvS1_PKiPT2_llS2_IjLj3EEmmmmmmmmm.num_named_barrier, 0
	.set _ZL10k_get_rowsILi32ELi2EXadL_ZL15dequantize_q5_0PKvliR15HIP_vector_typeIfLj2EEEE6__halfEvS1_PKiPT2_llS2_IjLj3EEmmmmmmmmm.private_seg_size, 0
	.set _ZL10k_get_rowsILi32ELi2EXadL_ZL15dequantize_q5_0PKvliR15HIP_vector_typeIfLj2EEEE6__halfEvS1_PKiPT2_llS2_IjLj3EEmmmmmmmmm.uses_vcc, 1
	.set _ZL10k_get_rowsILi32ELi2EXadL_ZL15dequantize_q5_0PKvliR15HIP_vector_typeIfLj2EEEE6__halfEvS1_PKiPT2_llS2_IjLj3EEmmmmmmmmm.uses_flat_scratch, 0
	.set _ZL10k_get_rowsILi32ELi2EXadL_ZL15dequantize_q5_0PKvliR15HIP_vector_typeIfLj2EEEE6__halfEvS1_PKiPT2_llS2_IjLj3EEmmmmmmmmm.has_dyn_sized_stack, 0
	.set _ZL10k_get_rowsILi32ELi2EXadL_ZL15dequantize_q5_0PKvliR15HIP_vector_typeIfLj2EEEE6__halfEvS1_PKiPT2_llS2_IjLj3EEmmmmmmmmm.has_recursion, 0
	.set _ZL10k_get_rowsILi32ELi2EXadL_ZL15dequantize_q5_0PKvliR15HIP_vector_typeIfLj2EEEE6__halfEvS1_PKiPT2_llS2_IjLj3EEmmmmmmmmm.has_indirect_call, 0
	.section	.AMDGPU.csdata,"",@progbits
; Kernel info:
; codeLenInByte = 816
; TotalNumSgprs: 56
; NumVgprs: 18
; NumAgprs: 0
; TotalNumVgprs: 18
; ScratchSize: 0
; MemoryBound: 0
; FloatMode: 240
; IeeeMode: 1
; LDSByteSize: 0 bytes/workgroup (compile time only)
; SGPRBlocks: 6
; VGPRBlocks: 2
; NumSGPRsForWavesPerEU: 56
; NumVGPRsForWavesPerEU: 18
; AccumOffset: 20
; Occupancy: 8
; WaveLimiterHint : 1
; COMPUTE_PGM_RSRC2:SCRATCH_EN: 0
; COMPUTE_PGM_RSRC2:USER_SGPR: 2
; COMPUTE_PGM_RSRC2:TRAP_HANDLER: 0
; COMPUTE_PGM_RSRC2:TGID_X_EN: 1
; COMPUTE_PGM_RSRC2:TGID_Y_EN: 1
; COMPUTE_PGM_RSRC2:TGID_Z_EN: 1
; COMPUTE_PGM_RSRC2:TIDIG_COMP_CNT: 0
; COMPUTE_PGM_RSRC3_GFX90A:ACCUM_OFFSET: 4
; COMPUTE_PGM_RSRC3_GFX90A:TG_SPLIT: 0
	.section	.text._ZL10k_get_rowsILi32ELi2EXadL_ZL15dequantize_q5_1PKvliR15HIP_vector_typeIfLj2EEEE6__halfEvS1_PKiPT2_llS2_IjLj3EEmmmmmmmmm,"axG",@progbits,_ZL10k_get_rowsILi32ELi2EXadL_ZL15dequantize_q5_1PKvliR15HIP_vector_typeIfLj2EEEE6__halfEvS1_PKiPT2_llS2_IjLj3EEmmmmmmmmm,comdat
	.globl	_ZL10k_get_rowsILi32ELi2EXadL_ZL15dequantize_q5_1PKvliR15HIP_vector_typeIfLj2EEEE6__halfEvS1_PKiPT2_llS2_IjLj3EEmmmmmmmmm ; -- Begin function _ZL10k_get_rowsILi32ELi2EXadL_ZL15dequantize_q5_1PKvliR15HIP_vector_typeIfLj2EEEE6__halfEvS1_PKiPT2_llS2_IjLj3EEmmmmmmmmm
	.p2align	8
	.type	_ZL10k_get_rowsILi32ELi2EXadL_ZL15dequantize_q5_1PKvliR15HIP_vector_typeIfLj2EEEE6__halfEvS1_PKiPT2_llS2_IjLj3EEmmmmmmmmm,@function
_ZL10k_get_rowsILi32ELi2EXadL_ZL15dequantize_q5_1PKvliR15HIP_vector_typeIfLj2EEEE6__halfEvS1_PKiPT2_llS2_IjLj3EEmmmmmmmmm: ; @_ZL10k_get_rowsILi32ELi2EXadL_ZL15dequantize_q5_1PKvliR15HIP_vector_typeIfLj2EEEE6__halfEvS1_PKiPT2_llS2_IjLj3EEmmmmmmmmm
; %bb.0:
	s_load_dwordx4 s[24:27], s[0:1], 0x18
	s_load_dwordx2 s[6:7], s[0:1], 0x2c
	s_mov_b32 s5, 0
	v_mov_b64_e32 v[2:3], s[4:5]
	s_waitcnt lgkmcnt(0)
	s_mul_i32 s8, s27, s7
	s_mul_hi_u32 s9, s26, s7
	s_add_i32 s39, s9, s8
	s_mul_i32 s38, s26, s7
	v_cmp_le_i64_e32 vcc, s[38:39], v[2:3]
	s_cbranch_vccnz .LBB28_6
; %bb.1:
	s_load_dwordx4 s[28:31], s[0:1], 0x0
	s_load_dwordx2 s[40:41], s[0:1], 0x10
	s_load_dwordx2 s[26:27], s[0:1], 0x78
	;; [unrolled: 1-line block ×3, first 2 shown]
	s_load_dword s33, s[0:1], 0x28
	s_load_dwordx16 s[8:23], s[0:1], 0x38
	s_add_u32 s36, s0, 0x80
	s_addc_u32 s37, s1, 0
	s_waitcnt lgkmcnt(0)
	s_and_b32 s35, s35, 0xffff
	s_mul_i32 s3, s3, s35
	v_add_lshl_u32 v0, s3, v0, 1
	s_ashr_i32 s3, s2, 31
	s_mul_hi_u32 s42, s20, s2
	s_mul_i32 s43, s20, s3
	s_add_i32 s42, s42, s43
	s_mul_i32 s21, s21, s2
	s_add_i32 s21, s42, s21
	s_mul_i32 s20, s20, s2
	s_lshl_b64 s[20:21], s[20:21], 2
	s_add_u32 s42, s30, s20
	s_mul_hi_u32 s20, s8, s2
	s_mul_i32 s3, s8, s3
	s_addc_u32 s43, s31, s21
	s_add_i32 s3, s20, s3
	s_mul_i32 s9, s9, s2
	s_add_i32 s3, s3, s9
	s_mul_i32 s2, s8, s2
	s_lshl_b64 s[2:3], s[2:3], 1
	v_mov_b32_e32 v1, 0
	s_add_u32 s44, s40, s2
	v_mov_b64_e32 v[2:3], v[0:1]
	v_cmp_gt_i64_e64 s[0:1], s[24:25], v[0:1]
	s_addc_u32 s45, s41, s3
	v_lshlrev_b64 v[4:5], 27, v[0:1]
	s_movk_i32 s46, 0xffe0
	v_mov_b64_e32 v[6:7], s[38:39]
	s_mov_b64 s[2:3], s[4:5]
	s_branch .LBB28_3
.LBB28_2:                               ;   in Loop: Header=BB28_3 Depth=1
	s_or_b64 exec, exec, s[8:9]
	s_add_u32 s2, s2, s34
	s_addc_u32 s3, s3, 0
	v_cmp_ge_i64_e32 vcc, s[2:3], v[6:7]
	s_cbranch_vccnz .LBB28_6
.LBB28_3:                               ; =>This Loop Header: Depth=1
                                        ;     Child Loop BB28_5 Depth 2
	s_and_saveexec_b64 s[8:9], s[0:1]
	s_cbranch_execz .LBB28_2
; %bb.4:                                ;   in Loop: Header=BB28_3 Depth=1
	s_mul_hi_u32 s4, s2, s33
	s_add_i32 s4, s4, s2
	s_lshr_b32 s4, s4, s6
	s_mul_i32 s20, s4, s7
	s_sub_i32 s38, s2, s20
	s_ashr_i32 s39, s4, 31
	s_mul_i32 s20, s22, s39
	s_mul_hi_u32 s21, s22, s4
	s_ashr_i32 s40, s38, 31
	s_add_i32 s20, s21, s20
	s_mul_i32 s21, s23, s4
	s_mul_i32 s30, s26, s40
	s_mul_hi_u32 s31, s26, s38
	s_add_i32 s21, s20, s21
	s_mul_i32 s20, s22, s4
	s_add_i32 s30, s31, s30
	s_mul_i32 s31, s27, s38
	s_add_i32 s31, s30, s31
	s_lshl_b64 s[20:21], s[20:21], 2
	s_mul_i32 s30, s26, s38
	s_add_u32 s41, s42, s20
	s_addc_u32 s47, s43, s21
	s_lshl_b64 s[20:21], s[30:31], 2
	s_add_u32 s20, s41, s20
	s_addc_u32 s21, s47, s21
	s_load_dword s30, s[20:21], 0x0
	s_mul_i32 s20, s10, s39
	s_mul_hi_u32 s21, s10, s4
	s_add_i32 s20, s21, s20
	s_mul_i32 s21, s11, s4
	s_add_i32 s21, s20, s21
	s_mul_i32 s20, s10, s4
	s_waitcnt lgkmcnt(0)
	s_ashr_i32 s31, s30, 31
	s_lshl_b64 s[20:21], s[20:21], 1
	s_add_u32 s41, s44, s20
	s_addc_u32 s47, s45, s21
	s_mul_i32 s20, s12, s40
	s_mul_hi_u32 s21, s12, s38
	s_add_i32 s20, s21, s20
	s_mul_i32 s21, s13, s38
	s_add_i32 s21, s20, s21
	s_mul_i32 s20, s12, s38
	s_lshl_b64 s[20:21], s[20:21], 1
	s_add_u32 s20, s41, s20
	s_mul_i32 s31, s14, s31
	s_mul_hi_u32 s41, s14, s30
	s_addc_u32 s21, s47, s21
	s_add_i32 s31, s41, s31
	s_mul_i32 s41, s15, s30
	s_add_i32 s31, s31, s41
	s_mul_i32 s30, s14, s30
	s_add_u32 s30, s28, s30
	s_mul_i32 s39, s16, s39
	s_mul_hi_u32 s41, s16, s4
	s_addc_u32 s31, s29, s31
	s_add_i32 s39, s41, s39
	s_mul_i32 s41, s17, s4
	s_add_i32 s39, s39, s41
	s_mul_i32 s4, s16, s4
	s_add_u32 s4, s30, s4
	s_mul_i32 s30, s18, s40
	s_load_dword s40, s[36:37], 0x4
	s_addc_u32 s31, s31, s39
	s_mul_hi_u32 s39, s18, s38
	s_add_i32 s30, s39, s30
	s_mul_i32 s39, s19, s38
	s_add_i32 s39, s30, s39
	s_mul_i32 s30, s18, s38
	s_add_u32 s30, s4, s30
	s_waitcnt lgkmcnt(0)
	s_mul_i32 s4, s40, s35
	s_addc_u32 s31, s31, s39
	s_lshl_b64 s[38:39], s[4:5], 27
	s_mov_b64 s[40:41], 0
	v_mov_b64_e32 v[8:9], v[4:5]
	v_mov_b64_e32 v[10:11], v[2:3]
.LBB28_5:                               ;   Parent Loop BB28_3 Depth=1
                                        ; =>  This Inner Loop Header: Depth=2
	v_bfe_u32 v0, v10, 1, 4
	v_mad_i64_i32 v[12:13], s[48:49], v9, 24, s[30:31]
	global_load_dwordx2 v[14:15], v[12:13], off
	v_lshl_add_u64 v[12:13], v[12:13], 0, v[0:1]
	global_load_ubyte v16, v[12:13], off offset:8
	v_add_u32_e32 v17, 12, v0
	v_and_or_b32 v12, v10, s46, v0
	v_lshl_add_u64 v[10:11], v[10:11], 0, s[4:5]
	v_ashrrev_i32_e32 v13, 31, v12
	v_cmp_le_i64_e32 vcc, s[24:25], v[10:11]
	v_lshl_add_u64 v[8:9], v[8:9], 0, s[38:39]
	v_lshl_add_u64 v[12:13], v[12:13], 1, s[20:21]
	s_or_b64 s[40:41], vcc, s[40:41]
	s_waitcnt vmcnt(1)
	v_lshrrev_b32_e32 v0, v0, v15
	v_lshrrev_b32_e32 v15, v17, v15
	v_lshlrev_b32_e32 v0, 4, v0
	s_waitcnt vmcnt(0)
	v_and_b32_e32 v17, 15, v16
	v_lshrrev_b16_e32 v16, 4, v16
	v_and_or_b32 v0, v0, 16, v17
	v_and_or_b32 v15, v15, 16, v16
	v_cvt_f32_ubyte0_e32 v0, v0
	v_cvt_f32_ubyte0_e32 v15, v15
	v_fma_mixlo_f16 v0, v14, v0, v14 op_sel:[0,0,1] op_sel_hi:[1,0,1]
	v_fma_mixlo_f16 v14, v14, v15, v14 op_sel:[0,0,1] op_sel_hi:[1,0,1]
	global_store_short v[12:13], v0, off
	global_store_short v[12:13], v14, off offset:32
	s_andn2_b64 exec, exec, s[40:41]
	s_cbranch_execnz .LBB28_5
	s_branch .LBB28_2
.LBB28_6:
	s_endpgm
	.section	.rodata,"a",@progbits
	.p2align	6, 0x0
	.amdhsa_kernel _ZL10k_get_rowsILi32ELi2EXadL_ZL15dequantize_q5_1PKvliR15HIP_vector_typeIfLj2EEEE6__halfEvS1_PKiPT2_llS2_IjLj3EEmmmmmmmmm
		.amdhsa_group_segment_fixed_size 0
		.amdhsa_private_segment_fixed_size 0
		.amdhsa_kernarg_size 384
		.amdhsa_user_sgpr_count 2
		.amdhsa_user_sgpr_dispatch_ptr 0
		.amdhsa_user_sgpr_queue_ptr 0
		.amdhsa_user_sgpr_kernarg_segment_ptr 1
		.amdhsa_user_sgpr_dispatch_id 0
		.amdhsa_user_sgpr_kernarg_preload_length 0
		.amdhsa_user_sgpr_kernarg_preload_offset 0
		.amdhsa_user_sgpr_private_segment_size 0
		.amdhsa_uses_dynamic_stack 0
		.amdhsa_enable_private_segment 0
		.amdhsa_system_sgpr_workgroup_id_x 1
		.amdhsa_system_sgpr_workgroup_id_y 1
		.amdhsa_system_sgpr_workgroup_id_z 1
		.amdhsa_system_sgpr_workgroup_info 0
		.amdhsa_system_vgpr_workitem_id 0
		.amdhsa_next_free_vgpr 18
		.amdhsa_next_free_sgpr 50
		.amdhsa_accum_offset 20
		.amdhsa_reserve_vcc 1
		.amdhsa_float_round_mode_32 0
		.amdhsa_float_round_mode_16_64 0
		.amdhsa_float_denorm_mode_32 3
		.amdhsa_float_denorm_mode_16_64 3
		.amdhsa_dx10_clamp 1
		.amdhsa_ieee_mode 1
		.amdhsa_fp16_overflow 0
		.amdhsa_tg_split 0
		.amdhsa_exception_fp_ieee_invalid_op 0
		.amdhsa_exception_fp_denorm_src 0
		.amdhsa_exception_fp_ieee_div_zero 0
		.amdhsa_exception_fp_ieee_overflow 0
		.amdhsa_exception_fp_ieee_underflow 0
		.amdhsa_exception_fp_ieee_inexact 0
		.amdhsa_exception_int_div_zero 0
	.end_amdhsa_kernel
	.section	.text._ZL10k_get_rowsILi32ELi2EXadL_ZL15dequantize_q5_1PKvliR15HIP_vector_typeIfLj2EEEE6__halfEvS1_PKiPT2_llS2_IjLj3EEmmmmmmmmm,"axG",@progbits,_ZL10k_get_rowsILi32ELi2EXadL_ZL15dequantize_q5_1PKvliR15HIP_vector_typeIfLj2EEEE6__halfEvS1_PKiPT2_llS2_IjLj3EEmmmmmmmmm,comdat
.Lfunc_end28:
	.size	_ZL10k_get_rowsILi32ELi2EXadL_ZL15dequantize_q5_1PKvliR15HIP_vector_typeIfLj2EEEE6__halfEvS1_PKiPT2_llS2_IjLj3EEmmmmmmmmm, .Lfunc_end28-_ZL10k_get_rowsILi32ELi2EXadL_ZL15dequantize_q5_1PKvliR15HIP_vector_typeIfLj2EEEE6__halfEvS1_PKiPT2_llS2_IjLj3EEmmmmmmmmm
                                        ; -- End function
	.set _ZL10k_get_rowsILi32ELi2EXadL_ZL15dequantize_q5_1PKvliR15HIP_vector_typeIfLj2EEEE6__halfEvS1_PKiPT2_llS2_IjLj3EEmmmmmmmmm.num_vgpr, 18
	.set _ZL10k_get_rowsILi32ELi2EXadL_ZL15dequantize_q5_1PKvliR15HIP_vector_typeIfLj2EEEE6__halfEvS1_PKiPT2_llS2_IjLj3EEmmmmmmmmm.num_agpr, 0
	.set _ZL10k_get_rowsILi32ELi2EXadL_ZL15dequantize_q5_1PKvliR15HIP_vector_typeIfLj2EEEE6__halfEvS1_PKiPT2_llS2_IjLj3EEmmmmmmmmm.numbered_sgpr, 50
	.set _ZL10k_get_rowsILi32ELi2EXadL_ZL15dequantize_q5_1PKvliR15HIP_vector_typeIfLj2EEEE6__halfEvS1_PKiPT2_llS2_IjLj3EEmmmmmmmmm.num_named_barrier, 0
	.set _ZL10k_get_rowsILi32ELi2EXadL_ZL15dequantize_q5_1PKvliR15HIP_vector_typeIfLj2EEEE6__halfEvS1_PKiPT2_llS2_IjLj3EEmmmmmmmmm.private_seg_size, 0
	.set _ZL10k_get_rowsILi32ELi2EXadL_ZL15dequantize_q5_1PKvliR15HIP_vector_typeIfLj2EEEE6__halfEvS1_PKiPT2_llS2_IjLj3EEmmmmmmmmm.uses_vcc, 1
	.set _ZL10k_get_rowsILi32ELi2EXadL_ZL15dequantize_q5_1PKvliR15HIP_vector_typeIfLj2EEEE6__halfEvS1_PKiPT2_llS2_IjLj3EEmmmmmmmmm.uses_flat_scratch, 0
	.set _ZL10k_get_rowsILi32ELi2EXadL_ZL15dequantize_q5_1PKvliR15HIP_vector_typeIfLj2EEEE6__halfEvS1_PKiPT2_llS2_IjLj3EEmmmmmmmmm.has_dyn_sized_stack, 0
	.set _ZL10k_get_rowsILi32ELi2EXadL_ZL15dequantize_q5_1PKvliR15HIP_vector_typeIfLj2EEEE6__halfEvS1_PKiPT2_llS2_IjLj3EEmmmmmmmmm.has_recursion, 0
	.set _ZL10k_get_rowsILi32ELi2EXadL_ZL15dequantize_q5_1PKvliR15HIP_vector_typeIfLj2EEEE6__halfEvS1_PKiPT2_llS2_IjLj3EEmmmmmmmmm.has_indirect_call, 0
	.section	.AMDGPU.csdata,"",@progbits
; Kernel info:
; codeLenInByte = 784
; TotalNumSgprs: 56
; NumVgprs: 18
; NumAgprs: 0
; TotalNumVgprs: 18
; ScratchSize: 0
; MemoryBound: 0
; FloatMode: 240
; IeeeMode: 1
; LDSByteSize: 0 bytes/workgroup (compile time only)
; SGPRBlocks: 6
; VGPRBlocks: 2
; NumSGPRsForWavesPerEU: 56
; NumVGPRsForWavesPerEU: 18
; AccumOffset: 20
; Occupancy: 8
; WaveLimiterHint : 1
; COMPUTE_PGM_RSRC2:SCRATCH_EN: 0
; COMPUTE_PGM_RSRC2:USER_SGPR: 2
; COMPUTE_PGM_RSRC2:TRAP_HANDLER: 0
; COMPUTE_PGM_RSRC2:TGID_X_EN: 1
; COMPUTE_PGM_RSRC2:TGID_Y_EN: 1
; COMPUTE_PGM_RSRC2:TGID_Z_EN: 1
; COMPUTE_PGM_RSRC2:TIDIG_COMP_CNT: 0
; COMPUTE_PGM_RSRC3_GFX90A:ACCUM_OFFSET: 4
; COMPUTE_PGM_RSRC3_GFX90A:TG_SPLIT: 0
	.section	.text._ZL10k_get_rowsILi32ELi1EXadL_ZL15dequantize_q8_0PKvliR15HIP_vector_typeIfLj2EEEE6__halfEvS1_PKiPT2_llS2_IjLj3EEmmmmmmmmm,"axG",@progbits,_ZL10k_get_rowsILi32ELi1EXadL_ZL15dequantize_q8_0PKvliR15HIP_vector_typeIfLj2EEEE6__halfEvS1_PKiPT2_llS2_IjLj3EEmmmmmmmmm,comdat
	.globl	_ZL10k_get_rowsILi32ELi1EXadL_ZL15dequantize_q8_0PKvliR15HIP_vector_typeIfLj2EEEE6__halfEvS1_PKiPT2_llS2_IjLj3EEmmmmmmmmm ; -- Begin function _ZL10k_get_rowsILi32ELi1EXadL_ZL15dequantize_q8_0PKvliR15HIP_vector_typeIfLj2EEEE6__halfEvS1_PKiPT2_llS2_IjLj3EEmmmmmmmmm
	.p2align	8
	.type	_ZL10k_get_rowsILi32ELi1EXadL_ZL15dequantize_q8_0PKvliR15HIP_vector_typeIfLj2EEEE6__halfEvS1_PKiPT2_llS2_IjLj3EEmmmmmmmmm,@function
_ZL10k_get_rowsILi32ELi1EXadL_ZL15dequantize_q8_0PKvliR15HIP_vector_typeIfLj2EEEE6__halfEvS1_PKiPT2_llS2_IjLj3EEmmmmmmmmm: ; @_ZL10k_get_rowsILi32ELi1EXadL_ZL15dequantize_q8_0PKvliR15HIP_vector_typeIfLj2EEEE6__halfEvS1_PKiPT2_llS2_IjLj3EEmmmmmmmmm
; %bb.0:
	s_load_dwordx4 s[24:27], s[0:1], 0x18
	s_load_dwordx2 s[6:7], s[0:1], 0x2c
	s_mov_b32 s5, 0
	v_mov_b64_e32 v[2:3], s[4:5]
	s_waitcnt lgkmcnt(0)
	s_mul_i32 s8, s27, s7
	s_mul_hi_u32 s9, s26, s7
	s_add_i32 s39, s9, s8
	s_mul_i32 s38, s26, s7
	v_cmp_le_i64_e32 vcc, s[38:39], v[2:3]
	s_cbranch_vccnz .LBB29_6
; %bb.1:
	s_load_dwordx4 s[28:31], s[0:1], 0x0
	s_load_dwordx2 s[40:41], s[0:1], 0x10
	s_load_dwordx2 s[26:27], s[0:1], 0x78
	;; [unrolled: 1-line block ×3, first 2 shown]
	s_load_dword s33, s[0:1], 0x28
	s_load_dwordx16 s[8:23], s[0:1], 0x38
	s_add_u32 s36, s0, 0x80
	s_addc_u32 s37, s1, 0
	s_waitcnt lgkmcnt(0)
	s_and_b32 s35, s35, 0xffff
	s_mul_i32 s3, s3, s35
	v_add_lshl_u32 v0, s3, v0, 1
	s_ashr_i32 s3, s2, 31
	s_mul_hi_u32 s42, s20, s2
	s_mul_i32 s43, s20, s3
	s_add_i32 s42, s42, s43
	s_mul_i32 s21, s21, s2
	s_add_i32 s21, s42, s21
	s_mul_i32 s20, s20, s2
	s_lshl_b64 s[20:21], s[20:21], 2
	s_add_u32 s44, s30, s20
	s_mul_hi_u32 s20, s8, s2
	s_mul_i32 s3, s8, s3
	s_addc_u32 s45, s31, s21
	s_add_i32 s3, s20, s3
	s_mul_i32 s9, s9, s2
	s_add_i32 s3, s3, s9
	s_mul_i32 s2, s8, s2
	s_lshl_b64 s[2:3], s[2:3], 1
	v_mov_b32_e32 v1, 0
	s_add_u32 s46, s40, s2
	v_mov_b64_e32 v[2:3], v[0:1]
	v_cmp_gt_i64_e64 s[0:1], s[24:25], v[0:1]
	s_addc_u32 s47, s41, s3
	v_lshlrev_b64 v[4:5], 27, v[0:1]
	v_mov_b32_e32 v6, v1
	v_mov_b32_e32 v7, v0
	v_mov_b64_e32 v[8:9], s[38:39]
	s_mov_b64 s[2:3], s[4:5]
	s_branch .LBB29_3
.LBB29_2:                               ;   in Loop: Header=BB29_3 Depth=1
	s_or_b64 exec, exec, s[8:9]
	s_add_u32 s2, s2, s34
	s_addc_u32 s3, s3, 0
	v_cmp_ge_i64_e32 vcc, s[2:3], v[8:9]
	s_cbranch_vccnz .LBB29_6
.LBB29_3:                               ; =>This Loop Header: Depth=1
                                        ;     Child Loop BB29_5 Depth 2
	s_and_saveexec_b64 s[8:9], s[0:1]
	s_cbranch_execz .LBB29_2
; %bb.4:                                ;   in Loop: Header=BB29_3 Depth=1
	s_mul_hi_u32 s4, s2, s33
	s_add_i32 s4, s4, s2
	s_lshr_b32 s4, s4, s6
	s_mul_i32 s20, s4, s7
	s_sub_i32 s38, s2, s20
	s_ashr_i32 s39, s4, 31
	s_mul_i32 s20, s22, s39
	s_mul_hi_u32 s21, s22, s4
	s_ashr_i32 s40, s38, 31
	s_add_i32 s20, s21, s20
	s_mul_i32 s21, s23, s4
	s_mul_i32 s30, s26, s40
	s_mul_hi_u32 s31, s26, s38
	s_add_i32 s21, s20, s21
	s_mul_i32 s20, s22, s4
	s_add_i32 s30, s31, s30
	s_mul_i32 s31, s27, s38
	s_add_i32 s31, s30, s31
	s_lshl_b64 s[20:21], s[20:21], 2
	s_mul_i32 s30, s26, s38
	s_add_u32 s41, s44, s20
	s_addc_u32 s42, s45, s21
	s_lshl_b64 s[20:21], s[30:31], 2
	s_add_u32 s20, s41, s20
	s_addc_u32 s21, s42, s21
	s_load_dword s30, s[20:21], 0x0
	s_mul_i32 s20, s10, s39
	s_mul_hi_u32 s21, s10, s4
	s_add_i32 s20, s21, s20
	s_mul_i32 s21, s11, s4
	s_add_i32 s21, s20, s21
	s_mul_i32 s20, s10, s4
	s_waitcnt lgkmcnt(0)
	s_ashr_i32 s31, s30, 31
	s_lshl_b64 s[20:21], s[20:21], 1
	s_add_u32 s41, s46, s20
	s_addc_u32 s42, s47, s21
	s_mul_i32 s20, s12, s40
	s_mul_hi_u32 s21, s12, s38
	s_add_i32 s20, s21, s20
	s_mul_i32 s21, s13, s38
	s_add_i32 s21, s20, s21
	s_mul_i32 s20, s12, s38
	s_lshl_b64 s[20:21], s[20:21], 1
	s_add_u32 s20, s41, s20
	s_mul_i32 s31, s14, s31
	s_mul_hi_u32 s41, s14, s30
	s_addc_u32 s21, s42, s21
	s_add_i32 s31, s41, s31
	s_mul_i32 s41, s15, s30
	s_add_i32 s31, s31, s41
	s_mul_i32 s30, s14, s30
	s_add_u32 s30, s28, s30
	s_mul_i32 s39, s16, s39
	s_mul_hi_u32 s41, s16, s4
	s_addc_u32 s31, s29, s31
	s_add_i32 s39, s41, s39
	s_mul_i32 s41, s17, s4
	s_add_i32 s39, s39, s41
	s_mul_i32 s4, s16, s4
	s_add_u32 s4, s30, s4
	s_mul_i32 s30, s18, s40
	s_load_dword s40, s[36:37], 0x4
	s_addc_u32 s31, s31, s39
	s_mul_hi_u32 s39, s18, s38
	s_add_i32 s30, s39, s30
	s_mul_i32 s39, s19, s38
	s_add_i32 s39, s30, s39
	s_mul_i32 s30, s18, s38
	s_add_u32 s30, s4, s30
	s_waitcnt lgkmcnt(0)
	s_mul_i32 s4, s40, s35
	s_addc_u32 s31, s31, s39
	s_lshl_b64 s[38:39], s[4:5], 27
	s_mov_b32 s40, s5
	s_mov_b32 s41, s4
	s_mov_b64 s[42:43], 0
	v_mov_b64_e32 v[10:11], v[6:7]
	v_mov_b64_e32 v[12:13], v[4:5]
	;; [unrolled: 1-line block ×3, first 2 shown]
.LBB29_5:                               ;   Parent Loop BB29_3 Depth=1
                                        ; =>  This Inner Loop Header: Depth=2
	v_mad_i64_i32 v[16:17], s[48:49], v13, 34, s[30:31]
	v_and_b32_e32 v0, 31, v14
	v_lshl_add_u64 v[18:19], v[16:17], 0, v[0:1]
	global_load_ushort v0, v[16:17], off
	global_load_ushort v20, v[18:19], off offset:2
	v_lshl_add_u64 v[14:15], v[14:15], 0, s[4:5]
	v_ashrrev_i64 v[16:17], 31, v[10:11]
	v_cmp_le_i64_e32 vcc, s[24:25], v[14:15]
	v_lshl_add_u64 v[12:13], v[12:13], 0, s[38:39]
	v_lshl_add_u64 v[10:11], v[10:11], 0, s[40:41]
	;; [unrolled: 1-line block ×3, first 2 shown]
	s_or_b64 s[42:43], vcc, s[42:43]
	s_waitcnt vmcnt(1)
	v_cvt_f32_f16_e32 v0, v0
	s_waitcnt vmcnt(0)
	v_bfe_i32 v18, v20, 0, 8
	v_ashrrev_i16_e32 v19, 8, v20
	v_cvt_f32_i32_sdwa v19, sext(v19) dst_sel:DWORD dst_unused:UNUSED_PAD src0_sel:WORD_0
	v_cvt_f32_i32_sdwa v18, sext(v18) dst_sel:DWORD dst_unused:UNUSED_PAD src0_sel:WORD_0
	v_pk_mul_f32 v[18:19], v[0:1], v[18:19] op_sel_hi:[0,1]
	v_cvt_pk_f16_f32 v0, v18, v19
	global_store_dword v[16:17], v0, off
	s_andn2_b64 exec, exec, s[42:43]
	s_cbranch_execnz .LBB29_5
	s_branch .LBB29_2
.LBB29_6:
	s_endpgm
	.section	.rodata,"a",@progbits
	.p2align	6, 0x0
	.amdhsa_kernel _ZL10k_get_rowsILi32ELi1EXadL_ZL15dequantize_q8_0PKvliR15HIP_vector_typeIfLj2EEEE6__halfEvS1_PKiPT2_llS2_IjLj3EEmmmmmmmmm
		.amdhsa_group_segment_fixed_size 0
		.amdhsa_private_segment_fixed_size 0
		.amdhsa_kernarg_size 384
		.amdhsa_user_sgpr_count 2
		.amdhsa_user_sgpr_dispatch_ptr 0
		.amdhsa_user_sgpr_queue_ptr 0
		.amdhsa_user_sgpr_kernarg_segment_ptr 1
		.amdhsa_user_sgpr_dispatch_id 0
		.amdhsa_user_sgpr_kernarg_preload_length 0
		.amdhsa_user_sgpr_kernarg_preload_offset 0
		.amdhsa_user_sgpr_private_segment_size 0
		.amdhsa_uses_dynamic_stack 0
		.amdhsa_enable_private_segment 0
		.amdhsa_system_sgpr_workgroup_id_x 1
		.amdhsa_system_sgpr_workgroup_id_y 1
		.amdhsa_system_sgpr_workgroup_id_z 1
		.amdhsa_system_sgpr_workgroup_info 0
		.amdhsa_system_vgpr_workitem_id 0
		.amdhsa_next_free_vgpr 21
		.amdhsa_next_free_sgpr 50
		.amdhsa_accum_offset 24
		.amdhsa_reserve_vcc 1
		.amdhsa_float_round_mode_32 0
		.amdhsa_float_round_mode_16_64 0
		.amdhsa_float_denorm_mode_32 3
		.amdhsa_float_denorm_mode_16_64 3
		.amdhsa_dx10_clamp 1
		.amdhsa_ieee_mode 1
		.amdhsa_fp16_overflow 0
		.amdhsa_tg_split 0
		.amdhsa_exception_fp_ieee_invalid_op 0
		.amdhsa_exception_fp_denorm_src 0
		.amdhsa_exception_fp_ieee_div_zero 0
		.amdhsa_exception_fp_ieee_overflow 0
		.amdhsa_exception_fp_ieee_underflow 0
		.amdhsa_exception_fp_ieee_inexact 0
		.amdhsa_exception_int_div_zero 0
	.end_amdhsa_kernel
	.section	.text._ZL10k_get_rowsILi32ELi1EXadL_ZL15dequantize_q8_0PKvliR15HIP_vector_typeIfLj2EEEE6__halfEvS1_PKiPT2_llS2_IjLj3EEmmmmmmmmm,"axG",@progbits,_ZL10k_get_rowsILi32ELi1EXadL_ZL15dequantize_q8_0PKvliR15HIP_vector_typeIfLj2EEEE6__halfEvS1_PKiPT2_llS2_IjLj3EEmmmmmmmmm,comdat
.Lfunc_end29:
	.size	_ZL10k_get_rowsILi32ELi1EXadL_ZL15dequantize_q8_0PKvliR15HIP_vector_typeIfLj2EEEE6__halfEvS1_PKiPT2_llS2_IjLj3EEmmmmmmmmm, .Lfunc_end29-_ZL10k_get_rowsILi32ELi1EXadL_ZL15dequantize_q8_0PKvliR15HIP_vector_typeIfLj2EEEE6__halfEvS1_PKiPT2_llS2_IjLj3EEmmmmmmmmm
                                        ; -- End function
	.set _ZL10k_get_rowsILi32ELi1EXadL_ZL15dequantize_q8_0PKvliR15HIP_vector_typeIfLj2EEEE6__halfEvS1_PKiPT2_llS2_IjLj3EEmmmmmmmmm.num_vgpr, 21
	.set _ZL10k_get_rowsILi32ELi1EXadL_ZL15dequantize_q8_0PKvliR15HIP_vector_typeIfLj2EEEE6__halfEvS1_PKiPT2_llS2_IjLj3EEmmmmmmmmm.num_agpr, 0
	.set _ZL10k_get_rowsILi32ELi1EXadL_ZL15dequantize_q8_0PKvliR15HIP_vector_typeIfLj2EEEE6__halfEvS1_PKiPT2_llS2_IjLj3EEmmmmmmmmm.numbered_sgpr, 50
	.set _ZL10k_get_rowsILi32ELi1EXadL_ZL15dequantize_q8_0PKvliR15HIP_vector_typeIfLj2EEEE6__halfEvS1_PKiPT2_llS2_IjLj3EEmmmmmmmmm.num_named_barrier, 0
	.set _ZL10k_get_rowsILi32ELi1EXadL_ZL15dequantize_q8_0PKvliR15HIP_vector_typeIfLj2EEEE6__halfEvS1_PKiPT2_llS2_IjLj3EEmmmmmmmmm.private_seg_size, 0
	.set _ZL10k_get_rowsILi32ELi1EXadL_ZL15dequantize_q8_0PKvliR15HIP_vector_typeIfLj2EEEE6__halfEvS1_PKiPT2_llS2_IjLj3EEmmmmmmmmm.uses_vcc, 1
	.set _ZL10k_get_rowsILi32ELi1EXadL_ZL15dequantize_q8_0PKvliR15HIP_vector_typeIfLj2EEEE6__halfEvS1_PKiPT2_llS2_IjLj3EEmmmmmmmmm.uses_flat_scratch, 0
	.set _ZL10k_get_rowsILi32ELi1EXadL_ZL15dequantize_q8_0PKvliR15HIP_vector_typeIfLj2EEEE6__halfEvS1_PKiPT2_llS2_IjLj3EEmmmmmmmmm.has_dyn_sized_stack, 0
	.set _ZL10k_get_rowsILi32ELi1EXadL_ZL15dequantize_q8_0PKvliR15HIP_vector_typeIfLj2EEEE6__halfEvS1_PKiPT2_llS2_IjLj3EEmmmmmmmmm.has_recursion, 0
	.set _ZL10k_get_rowsILi32ELi1EXadL_ZL15dequantize_q8_0PKvliR15HIP_vector_typeIfLj2EEEE6__halfEvS1_PKiPT2_llS2_IjLj3EEmmmmmmmmm.has_indirect_call, 0
	.section	.AMDGPU.csdata,"",@progbits
; Kernel info:
; codeLenInByte = 776
; TotalNumSgprs: 56
; NumVgprs: 21
; NumAgprs: 0
; TotalNumVgprs: 21
; ScratchSize: 0
; MemoryBound: 0
; FloatMode: 240
; IeeeMode: 1
; LDSByteSize: 0 bytes/workgroup (compile time only)
; SGPRBlocks: 6
; VGPRBlocks: 2
; NumSGPRsForWavesPerEU: 56
; NumVGPRsForWavesPerEU: 21
; AccumOffset: 24
; Occupancy: 8
; WaveLimiterHint : 1
; COMPUTE_PGM_RSRC2:SCRATCH_EN: 0
; COMPUTE_PGM_RSRC2:USER_SGPR: 2
; COMPUTE_PGM_RSRC2:TRAP_HANDLER: 0
; COMPUTE_PGM_RSRC2:TGID_X_EN: 1
; COMPUTE_PGM_RSRC2:TGID_Y_EN: 1
; COMPUTE_PGM_RSRC2:TGID_Z_EN: 1
; COMPUTE_PGM_RSRC2:TIDIG_COMP_CNT: 0
; COMPUTE_PGM_RSRC3_GFX90A:ACCUM_OFFSET: 5
; COMPUTE_PGM_RSRC3_GFX90A:TG_SPLIT: 0
	.section	.text._ZL16k_get_rows_floatI6__half14__hip_bfloat16EvPKT_PKiPT0_ll15HIP_vector_typeIjLj3EEmmmmmmmmm,"axG",@progbits,_ZL16k_get_rows_floatI6__half14__hip_bfloat16EvPKT_PKiPT0_ll15HIP_vector_typeIjLj3EEmmmmmmmmm,comdat
	.globl	_ZL16k_get_rows_floatI6__half14__hip_bfloat16EvPKT_PKiPT0_ll15HIP_vector_typeIjLj3EEmmmmmmmmm ; -- Begin function _ZL16k_get_rows_floatI6__half14__hip_bfloat16EvPKT_PKiPT0_ll15HIP_vector_typeIjLj3EEmmmmmmmmm
	.p2align	8
	.type	_ZL16k_get_rows_floatI6__half14__hip_bfloat16EvPKT_PKiPT0_ll15HIP_vector_typeIjLj3EEmmmmmmmmm,@function
_ZL16k_get_rows_floatI6__half14__hip_bfloat16EvPKT_PKiPT0_ll15HIP_vector_typeIjLj3EEmmmmmmmmm: ; @_ZL16k_get_rows_floatI6__half14__hip_bfloat16EvPKT_PKiPT0_ll15HIP_vector_typeIjLj3EEmmmmmmmmm
; %bb.0:
	s_load_dwordx2 s[8:9], s[0:1], 0x20
	s_load_dwordx2 s[6:7], s[0:1], 0x2c
	s_mov_b32 s5, 0
	v_mov_b64_e32 v[2:3], s[4:5]
	s_waitcnt lgkmcnt(0)
	s_mul_i32 s9, s9, s7
	s_mul_hi_u32 s10, s8, s7
	s_add_i32 s41, s10, s9
	s_mul_i32 s40, s8, s7
	v_cmp_le_i64_e32 vcc, s[40:41], v[2:3]
	s_cbranch_vccnz .LBB30_6
; %bb.1:
	s_load_dwordx8 s[24:31], s[0:1], 0x0
	s_load_dwordx2 s[34:35], s[0:1], 0x78
	s_load_dwordx2 s[36:37], s[0:1], 0x88
	s_load_dword s33, s[0:1], 0x28
	s_load_dwordx16 s[8:23], s[0:1], 0x38
	s_add_u32 s38, s0, 0x80
	s_addc_u32 s39, s1, 0
	s_waitcnt lgkmcnt(0)
	s_and_b32 s37, s37, 0xffff
	s_mul_i32 s3, s3, s37
	v_add_u32_e32 v0, s3, v0
	s_ashr_i32 s3, s2, 31
	s_mul_hi_u32 s42, s20, s2
	s_mul_i32 s43, s20, s3
	s_add_i32 s42, s42, s43
	s_mul_i32 s21, s21, s2
	s_add_i32 s21, s42, s21
	s_mul_i32 s20, s20, s2
	s_lshl_b64 s[20:21], s[20:21], 2
	s_add_u32 s42, s26, s20
	s_mul_hi_u32 s20, s8, s2
	s_mul_i32 s3, s8, s3
	s_addc_u32 s43, s27, s21
	s_add_i32 s3, s20, s3
	s_mul_i32 s9, s9, s2
	s_add_i32 s3, s3, s9
	s_mul_i32 s2, s8, s2
	s_lshl_b64 s[2:3], s[2:3], 1
	v_mov_b32_e32 v1, 0
	s_add_u32 s2, s28, s2
	v_lshlrev_b64 v[4:5], 1, v[0:1]
	s_addc_u32 s3, s29, s3
	v_cmp_gt_i64_e64 s[0:1], s[30:31], v[0:1]
	v_lshl_add_u64 v[2:3], s[2:3], 0, v[4:5]
	s_lshl_b64 s[2:3], s[10:11], 1
	s_lshl_b64 s[8:9], s[12:13], 1
	v_lshl_add_u64 v[4:5], s[24:25], 0, v[4:5]
	v_mov_b64_e32 v[6:7], s[40:41]
	s_mov_b64 s[10:11], s[4:5]
	s_branch .LBB30_3
.LBB30_2:                               ;   in Loop: Header=BB30_3 Depth=1
	s_or_b64 exec, exec, s[12:13]
	s_add_u32 s10, s10, s36
	s_addc_u32 s11, s11, 0
	v_cmp_lt_i64_e32 vcc, s[10:11], v[6:7]
	s_cbranch_vccz .LBB30_6
.LBB30_3:                               ; =>This Loop Header: Depth=1
                                        ;     Child Loop BB30_5 Depth 2
	s_and_saveexec_b64 s[12:13], s[0:1]
	s_cbranch_execz .LBB30_2
; %bb.4:                                ;   in Loop: Header=BB30_3 Depth=1
	s_mul_hi_u32 s4, s10, s33
	s_add_i32 s4, s4, s10
	s_lshr_b32 s26, s4, s6
	s_mul_i32 s4, s26, s7
	s_ashr_i32 s28, s26, 31
	s_sub_i32 s27, s10, s4
	s_mul_i32 s4, s22, s28
	s_mul_hi_u32 s20, s22, s26
	s_add_i32 s4, s20, s4
	s_mul_i32 s20, s23, s26
	s_ashr_i32 s29, s27, 31
	s_add_i32 s21, s4, s20
	s_mul_i32 s4, s34, s29
	s_mul_hi_u32 s24, s34, s27
	s_mul_i32 s20, s22, s26
	s_add_i32 s4, s24, s4
	s_mul_i32 s24, s35, s27
	s_add_i32 s25, s4, s24
	s_lshl_b64 s[20:21], s[20:21], 2
	s_mul_i32 s24, s34, s27
	s_add_u32 s4, s42, s20
	s_addc_u32 s40, s43, s21
	s_lshl_b64 s[20:21], s[24:25], 2
	s_load_dword s25, s[38:39], 0x4
	s_add_u32 s20, s4, s20
	s_mul_i32 s4, s16, s28
	s_mul_hi_u32 s24, s16, s26
	s_addc_u32 s21, s40, s21
	s_add_i32 s4, s24, s4
	s_mul_i32 s24, s17, s26
	s_add_i32 s40, s4, s24
	s_waitcnt lgkmcnt(0)
	s_mul_i32 s4, s25, s37
	s_mul_i32 s24, s2, s28
	s_mul_hi_u32 s25, s2, s26
	s_add_i32 s24, s25, s24
	s_mul_i32 s25, s3, s26
	s_mul_i32 s41, s16, s26
	s_add_i32 s25, s24, s25
	s_mul_i32 s24, s2, s26
	s_mul_i32 s26, s8, s29
	s_mul_hi_u32 s28, s8, s27
	s_add_i32 s26, s28, s26
	s_mul_i32 s28, s9, s27
	s_add_i32 s26, s26, s28
	s_mul_i32 s28, s8, s27
	s_add_u32 s24, s24, s28
	s_addc_u32 s25, s25, s26
	s_mul_i32 s26, s18, s29
	s_mul_hi_u32 s28, s18, s27
	s_add_i32 s26, s28, s26
	s_mul_i32 s28, s19, s27
	v_lshl_add_u64 v[8:9], v[2:3], 0, s[24:25]
	s_lshl_b64 s[24:25], s[4:5], 1
	s_add_i32 s28, s26, s28
	s_mul_i32 s26, s18, s27
	s_add_u32 s26, s41, s26
	s_addc_u32 s27, s40, s28
	v_lshl_add_u64 v[10:11], v[4:5], 0, s[26:27]
	s_mov_b64 s[26:27], 0
	s_mov_b64 s[28:29], 0
	v_mov_b64_e32 v[12:13], v[0:1]
.LBB30_5:                               ;   Parent Loop BB30_3 Depth=1
                                        ; =>  This Inner Loop Header: Depth=2
	global_load_dword v14, v1, s[20:21]
	v_lshl_add_u64 v[12:13], v[12:13], 0, s[4:5]
	v_cmp_le_i64_e32 vcc, s[30:31], v[12:13]
	s_waitcnt vmcnt(0)
	v_ashrrev_i32_e32 v15, 31, v14
	v_mul_hi_u32 v16, s14, v14
	v_mul_lo_u32 v15, s14, v15
	v_mul_lo_u32 v17, s15, v14
	v_add_u32_e32 v15, v16, v15
	v_mul_lo_u32 v14, s14, v14
	v_add_u32_e32 v15, v15, v17
	v_lshl_add_u64 v[14:15], s[28:29], 0, v[14:15]
	v_lshl_add_u64 v[14:15], v[10:11], 0, v[14:15]
	global_load_ushort v16, v[14:15], off
	v_lshl_add_u64 v[14:15], v[8:9], 0, s[28:29]
	s_add_u32 s28, s28, s24
	s_addc_u32 s29, s29, s25
	s_or_b64 s[26:27], vcc, s[26:27]
	s_waitcnt vmcnt(0)
	v_cvt_f32_f16_e32 v16, v16
	v_cvt_pk_bf16_f32 v16, v16, s0
	global_store_short v[14:15], v16, off
	s_andn2_b64 exec, exec, s[26:27]
	s_cbranch_execnz .LBB30_5
	s_branch .LBB30_2
.LBB30_6:
	s_endpgm
	.section	.rodata,"a",@progbits
	.p2align	6, 0x0
	.amdhsa_kernel _ZL16k_get_rows_floatI6__half14__hip_bfloat16EvPKT_PKiPT0_ll15HIP_vector_typeIjLj3EEmmmmmmmmm
		.amdhsa_group_segment_fixed_size 0
		.amdhsa_private_segment_fixed_size 0
		.amdhsa_kernarg_size 384
		.amdhsa_user_sgpr_count 2
		.amdhsa_user_sgpr_dispatch_ptr 0
		.amdhsa_user_sgpr_queue_ptr 0
		.amdhsa_user_sgpr_kernarg_segment_ptr 1
		.amdhsa_user_sgpr_dispatch_id 0
		.amdhsa_user_sgpr_kernarg_preload_length 0
		.amdhsa_user_sgpr_kernarg_preload_offset 0
		.amdhsa_user_sgpr_private_segment_size 0
		.amdhsa_uses_dynamic_stack 0
		.amdhsa_enable_private_segment 0
		.amdhsa_system_sgpr_workgroup_id_x 1
		.amdhsa_system_sgpr_workgroup_id_y 1
		.amdhsa_system_sgpr_workgroup_id_z 1
		.amdhsa_system_sgpr_workgroup_info 0
		.amdhsa_system_vgpr_workitem_id 0
		.amdhsa_next_free_vgpr 18
		.amdhsa_next_free_sgpr 44
		.amdhsa_accum_offset 20
		.amdhsa_reserve_vcc 1
		.amdhsa_float_round_mode_32 0
		.amdhsa_float_round_mode_16_64 0
		.amdhsa_float_denorm_mode_32 3
		.amdhsa_float_denorm_mode_16_64 3
		.amdhsa_dx10_clamp 1
		.amdhsa_ieee_mode 1
		.amdhsa_fp16_overflow 0
		.amdhsa_tg_split 0
		.amdhsa_exception_fp_ieee_invalid_op 0
		.amdhsa_exception_fp_denorm_src 0
		.amdhsa_exception_fp_ieee_div_zero 0
		.amdhsa_exception_fp_ieee_overflow 0
		.amdhsa_exception_fp_ieee_underflow 0
		.amdhsa_exception_fp_ieee_inexact 0
		.amdhsa_exception_int_div_zero 0
	.end_amdhsa_kernel
	.section	.text._ZL16k_get_rows_floatI6__half14__hip_bfloat16EvPKT_PKiPT0_ll15HIP_vector_typeIjLj3EEmmmmmmmmm,"axG",@progbits,_ZL16k_get_rows_floatI6__half14__hip_bfloat16EvPKT_PKiPT0_ll15HIP_vector_typeIjLj3EEmmmmmmmmm,comdat
.Lfunc_end30:
	.size	_ZL16k_get_rows_floatI6__half14__hip_bfloat16EvPKT_PKiPT0_ll15HIP_vector_typeIjLj3EEmmmmmmmmm, .Lfunc_end30-_ZL16k_get_rows_floatI6__half14__hip_bfloat16EvPKT_PKiPT0_ll15HIP_vector_typeIjLj3EEmmmmmmmmm
                                        ; -- End function
	.set _ZL16k_get_rows_floatI6__half14__hip_bfloat16EvPKT_PKiPT0_ll15HIP_vector_typeIjLj3EEmmmmmmmmm.num_vgpr, 18
	.set _ZL16k_get_rows_floatI6__half14__hip_bfloat16EvPKT_PKiPT0_ll15HIP_vector_typeIjLj3EEmmmmmmmmm.num_agpr, 0
	.set _ZL16k_get_rows_floatI6__half14__hip_bfloat16EvPKT_PKiPT0_ll15HIP_vector_typeIjLj3EEmmmmmmmmm.numbered_sgpr, 44
	.set _ZL16k_get_rows_floatI6__half14__hip_bfloat16EvPKT_PKiPT0_ll15HIP_vector_typeIjLj3EEmmmmmmmmm.num_named_barrier, 0
	.set _ZL16k_get_rows_floatI6__half14__hip_bfloat16EvPKT_PKiPT0_ll15HIP_vector_typeIjLj3EEmmmmmmmmm.private_seg_size, 0
	.set _ZL16k_get_rows_floatI6__half14__hip_bfloat16EvPKT_PKiPT0_ll15HIP_vector_typeIjLj3EEmmmmmmmmm.uses_vcc, 1
	.set _ZL16k_get_rows_floatI6__half14__hip_bfloat16EvPKT_PKiPT0_ll15HIP_vector_typeIjLj3EEmmmmmmmmm.uses_flat_scratch, 0
	.set _ZL16k_get_rows_floatI6__half14__hip_bfloat16EvPKT_PKiPT0_ll15HIP_vector_typeIjLj3EEmmmmmmmmm.has_dyn_sized_stack, 0
	.set _ZL16k_get_rows_floatI6__half14__hip_bfloat16EvPKT_PKiPT0_ll15HIP_vector_typeIjLj3EEmmmmmmmmm.has_recursion, 0
	.set _ZL16k_get_rows_floatI6__half14__hip_bfloat16EvPKT_PKiPT0_ll15HIP_vector_typeIjLj3EEmmmmmmmmm.has_indirect_call, 0
	.section	.AMDGPU.csdata,"",@progbits
; Kernel info:
; codeLenInByte = 696
; TotalNumSgprs: 50
; NumVgprs: 18
; NumAgprs: 0
; TotalNumVgprs: 18
; ScratchSize: 0
; MemoryBound: 0
; FloatMode: 240
; IeeeMode: 1
; LDSByteSize: 0 bytes/workgroup (compile time only)
; SGPRBlocks: 6
; VGPRBlocks: 2
; NumSGPRsForWavesPerEU: 50
; NumVGPRsForWavesPerEU: 18
; AccumOffset: 20
; Occupancy: 8
; WaveLimiterHint : 1
; COMPUTE_PGM_RSRC2:SCRATCH_EN: 0
; COMPUTE_PGM_RSRC2:USER_SGPR: 2
; COMPUTE_PGM_RSRC2:TRAP_HANDLER: 0
; COMPUTE_PGM_RSRC2:TGID_X_EN: 1
; COMPUTE_PGM_RSRC2:TGID_Y_EN: 1
; COMPUTE_PGM_RSRC2:TGID_Z_EN: 1
; COMPUTE_PGM_RSRC2:TIDIG_COMP_CNT: 0
; COMPUTE_PGM_RSRC3_GFX90A:ACCUM_OFFSET: 4
; COMPUTE_PGM_RSRC3_GFX90A:TG_SPLIT: 0
	.section	.text._ZL16k_get_rows_floatIf14__hip_bfloat16EvPKT_PKiPT0_ll15HIP_vector_typeIjLj3EEmmmmmmmmm,"axG",@progbits,_ZL16k_get_rows_floatIf14__hip_bfloat16EvPKT_PKiPT0_ll15HIP_vector_typeIjLj3EEmmmmmmmmm,comdat
	.globl	_ZL16k_get_rows_floatIf14__hip_bfloat16EvPKT_PKiPT0_ll15HIP_vector_typeIjLj3EEmmmmmmmmm ; -- Begin function _ZL16k_get_rows_floatIf14__hip_bfloat16EvPKT_PKiPT0_ll15HIP_vector_typeIjLj3EEmmmmmmmmm
	.p2align	8
	.type	_ZL16k_get_rows_floatIf14__hip_bfloat16EvPKT_PKiPT0_ll15HIP_vector_typeIjLj3EEmmmmmmmmm,@function
_ZL16k_get_rows_floatIf14__hip_bfloat16EvPKT_PKiPT0_ll15HIP_vector_typeIjLj3EEmmmmmmmmm: ; @_ZL16k_get_rows_floatIf14__hip_bfloat16EvPKT_PKiPT0_ll15HIP_vector_typeIjLj3EEmmmmmmmmm
; %bb.0:
	s_load_dwordx2 s[8:9], s[0:1], 0x20
	s_load_dwordx2 s[6:7], s[0:1], 0x2c
	s_mov_b32 s5, 0
	v_mov_b64_e32 v[2:3], s[4:5]
	s_waitcnt lgkmcnt(0)
	s_mul_i32 s9, s9, s7
	s_mul_hi_u32 s10, s8, s7
	s_add_i32 s39, s10, s9
	s_mul_i32 s38, s8, s7
	v_cmp_le_i64_e32 vcc, s[38:39], v[2:3]
	s_cbranch_vccnz .LBB31_6
; %bb.1:
	s_load_dwordx8 s[24:31], s[0:1], 0x0
	s_load_dword s33, s[0:1], 0x28
	s_load_dwordx2 s[34:35], s[0:1], 0x78
	s_load_dwordx2 s[36:37], s[0:1], 0x88
	s_load_dwordx16 s[8:23], s[0:1], 0x38
	s_waitcnt lgkmcnt(0)
	v_mov_b32_e32 v4, s24
	s_add_u32 s24, s0, 0x80
	v_mov_b32_e32 v5, s25
	s_addc_u32 s25, s1, 0
	s_and_b32 s37, s37, 0xffff
	s_mul_i32 s3, s3, s37
	v_add_u32_e32 v0, s3, v0
	s_ashr_i32 s3, s2, 31
	s_mul_hi_u32 s40, s20, s2
	s_mul_i32 s41, s20, s3
	s_add_i32 s40, s40, s41
	s_mul_i32 s21, s21, s2
	s_add_i32 s21, s40, s21
	s_mul_i32 s20, s20, s2
	s_lshl_b64 s[20:21], s[20:21], 2
	s_add_u32 s40, s26, s20
	s_mul_hi_u32 s20, s8, s2
	s_mul_i32 s3, s8, s3
	s_addc_u32 s41, s27, s21
	s_add_i32 s3, s20, s3
	s_mul_i32 s9, s9, s2
	s_add_i32 s3, s3, s9
	s_mul_i32 s2, s8, s2
	s_lshl_b64 s[2:3], s[2:3], 1
	s_add_u32 s2, s28, s2
	v_mov_b32_e32 v1, 0
	s_addc_u32 s3, s29, s3
	v_cmp_gt_i64_e64 s[0:1], s[30:31], v[0:1]
	v_lshl_add_u64 v[2:3], v[0:1], 1, s[2:3]
	s_lshl_b64 s[2:3], s[10:11], 1
	s_lshl_b64 s[8:9], s[12:13], 1
	v_lshl_add_u64 v[4:5], v[0:1], 2, v[4:5]
	v_mov_b64_e32 v[6:7], s[38:39]
	s_mov_b64 s[10:11], s[4:5]
	s_branch .LBB31_3
.LBB31_2:                               ;   in Loop: Header=BB31_3 Depth=1
	s_or_b64 exec, exec, s[12:13]
	s_add_u32 s10, s10, s36
	s_addc_u32 s11, s11, 0
	v_cmp_lt_i64_e32 vcc, s[10:11], v[6:7]
	s_cbranch_vccz .LBB31_6
.LBB31_3:                               ; =>This Loop Header: Depth=1
                                        ;     Child Loop BB31_5 Depth 2
	s_and_saveexec_b64 s[12:13], s[0:1]
	s_cbranch_execz .LBB31_2
; %bb.4:                                ;   in Loop: Header=BB31_3 Depth=1
	s_mul_hi_u32 s4, s10, s33
	s_add_i32 s4, s4, s10
	s_lshr_b32 s28, s4, s6
	s_mul_i32 s4, s28, s7
	s_ashr_i32 s38, s28, 31
	s_sub_i32 s29, s10, s4
	s_mul_i32 s4, s22, s38
	s_mul_hi_u32 s20, s22, s28
	s_add_i32 s4, s20, s4
	s_mul_i32 s20, s23, s28
	s_ashr_i32 s39, s29, 31
	s_add_i32 s21, s4, s20
	s_mul_i32 s4, s34, s39
	s_mul_hi_u32 s26, s34, s29
	s_mul_i32 s20, s22, s28
	s_add_i32 s4, s26, s4
	s_mul_i32 s26, s35, s29
	s_add_i32 s27, s4, s26
	s_lshl_b64 s[20:21], s[20:21], 2
	s_mul_i32 s26, s34, s29
	s_add_u32 s4, s40, s20
	s_addc_u32 s42, s41, s21
	s_lshl_b64 s[20:21], s[26:27], 2
	s_load_dword s27, s[24:25], 0x4
	s_add_u32 s20, s4, s20
	s_mul_i32 s4, s16, s38
	s_mul_hi_u32 s26, s16, s28
	s_addc_u32 s21, s42, s21
	s_add_i32 s4, s26, s4
	s_mul_i32 s26, s17, s28
	s_add_i32 s42, s4, s26
	s_waitcnt lgkmcnt(0)
	s_mul_i32 s4, s27, s37
	s_mul_i32 s26, s2, s38
	s_mul_hi_u32 s27, s2, s28
	s_add_i32 s26, s27, s26
	s_mul_i32 s27, s3, s28
	s_mul_i32 s43, s16, s28
	s_add_i32 s27, s26, s27
	s_mul_i32 s26, s2, s28
	s_mul_i32 s28, s8, s39
	s_mul_hi_u32 s38, s8, s29
	s_add_i32 s28, s38, s28
	s_mul_i32 s38, s9, s29
	s_add_i32 s28, s28, s38
	s_mul_i32 s38, s8, s29
	s_add_u32 s26, s26, s38
	s_addc_u32 s27, s27, s28
	s_mul_i32 s28, s18, s39
	s_mul_hi_u32 s38, s18, s29
	s_add_i32 s28, s38, s28
	s_mul_i32 s38, s19, s29
	v_lshl_add_u64 v[8:9], v[2:3], 0, s[26:27]
	s_lshl_b64 s[26:27], s[4:5], 1
	s_add_i32 s38, s28, s38
	s_mul_i32 s28, s18, s29
	s_add_u32 s28, s43, s28
	s_addc_u32 s29, s42, s38
	v_lshl_add_u64 v[10:11], v[4:5], 0, s[28:29]
	s_lshl_b64 s[28:29], s[4:5], 2
	s_mov_b64 s[38:39], 0
	v_mov_b64_e32 v[12:13], v[0:1]
.LBB31_5:                               ;   Parent Loop BB31_3 Depth=1
                                        ; =>  This Inner Loop Header: Depth=2
	global_load_dword v14, v1, s[20:21]
	v_lshl_add_u64 v[12:13], v[12:13], 0, s[4:5]
	v_cmp_le_i64_e32 vcc, s[30:31], v[12:13]
	s_or_b64 s[38:39], vcc, s[38:39]
	s_waitcnt vmcnt(0)
	v_ashrrev_i32_e32 v16, 31, v14
	v_mul_lo_u32 v17, s15, v14
	v_mul_lo_u32 v16, s14, v16
	v_mad_u64_u32 v[14:15], s[42:43], s14, v14, v[10:11]
	v_add_u32_e32 v16, v16, v17
	v_add_u32_e32 v15, v16, v15
	global_load_dword v14, v[14:15], off
	v_lshl_add_u64 v[10:11], v[10:11], 0, s[28:29]
	s_waitcnt vmcnt(0)
	v_cvt_pk_bf16_f32 v14, v14, s0
	global_store_short v[8:9], v14, off
	v_lshl_add_u64 v[8:9], v[8:9], 0, s[26:27]
	s_andn2_b64 exec, exec, s[38:39]
	s_cbranch_execnz .LBB31_5
	s_branch .LBB31_2
.LBB31_6:
	s_endpgm
	.section	.rodata,"a",@progbits
	.p2align	6, 0x0
	.amdhsa_kernel _ZL16k_get_rows_floatIf14__hip_bfloat16EvPKT_PKiPT0_ll15HIP_vector_typeIjLj3EEmmmmmmmmm
		.amdhsa_group_segment_fixed_size 0
		.amdhsa_private_segment_fixed_size 0
		.amdhsa_kernarg_size 384
		.amdhsa_user_sgpr_count 2
		.amdhsa_user_sgpr_dispatch_ptr 0
		.amdhsa_user_sgpr_queue_ptr 0
		.amdhsa_user_sgpr_kernarg_segment_ptr 1
		.amdhsa_user_sgpr_dispatch_id 0
		.amdhsa_user_sgpr_kernarg_preload_length 0
		.amdhsa_user_sgpr_kernarg_preload_offset 0
		.amdhsa_user_sgpr_private_segment_size 0
		.amdhsa_uses_dynamic_stack 0
		.amdhsa_enable_private_segment 0
		.amdhsa_system_sgpr_workgroup_id_x 1
		.amdhsa_system_sgpr_workgroup_id_y 1
		.amdhsa_system_sgpr_workgroup_id_z 1
		.amdhsa_system_sgpr_workgroup_info 0
		.amdhsa_system_vgpr_workitem_id 0
		.amdhsa_next_free_vgpr 18
		.amdhsa_next_free_sgpr 44
		.amdhsa_accum_offset 20
		.amdhsa_reserve_vcc 1
		.amdhsa_float_round_mode_32 0
		.amdhsa_float_round_mode_16_64 0
		.amdhsa_float_denorm_mode_32 3
		.amdhsa_float_denorm_mode_16_64 3
		.amdhsa_dx10_clamp 1
		.amdhsa_ieee_mode 1
		.amdhsa_fp16_overflow 0
		.amdhsa_tg_split 0
		.amdhsa_exception_fp_ieee_invalid_op 0
		.amdhsa_exception_fp_denorm_src 0
		.amdhsa_exception_fp_ieee_div_zero 0
		.amdhsa_exception_fp_ieee_overflow 0
		.amdhsa_exception_fp_ieee_underflow 0
		.amdhsa_exception_fp_ieee_inexact 0
		.amdhsa_exception_int_div_zero 0
	.end_amdhsa_kernel
	.section	.text._ZL16k_get_rows_floatIf14__hip_bfloat16EvPKT_PKiPT0_ll15HIP_vector_typeIjLj3EEmmmmmmmmm,"axG",@progbits,_ZL16k_get_rows_floatIf14__hip_bfloat16EvPKT_PKiPT0_ll15HIP_vector_typeIjLj3EEmmmmmmmmm,comdat
.Lfunc_end31:
	.size	_ZL16k_get_rows_floatIf14__hip_bfloat16EvPKT_PKiPT0_ll15HIP_vector_typeIjLj3EEmmmmmmmmm, .Lfunc_end31-_ZL16k_get_rows_floatIf14__hip_bfloat16EvPKT_PKiPT0_ll15HIP_vector_typeIjLj3EEmmmmmmmmm
                                        ; -- End function
	.set _ZL16k_get_rows_floatIf14__hip_bfloat16EvPKT_PKiPT0_ll15HIP_vector_typeIjLj3EEmmmmmmmmm.num_vgpr, 18
	.set _ZL16k_get_rows_floatIf14__hip_bfloat16EvPKT_PKiPT0_ll15HIP_vector_typeIjLj3EEmmmmmmmmm.num_agpr, 0
	.set _ZL16k_get_rows_floatIf14__hip_bfloat16EvPKT_PKiPT0_ll15HIP_vector_typeIjLj3EEmmmmmmmmm.numbered_sgpr, 44
	.set _ZL16k_get_rows_floatIf14__hip_bfloat16EvPKT_PKiPT0_ll15HIP_vector_typeIjLj3EEmmmmmmmmm.num_named_barrier, 0
	.set _ZL16k_get_rows_floatIf14__hip_bfloat16EvPKT_PKiPT0_ll15HIP_vector_typeIjLj3EEmmmmmmmmm.private_seg_size, 0
	.set _ZL16k_get_rows_floatIf14__hip_bfloat16EvPKT_PKiPT0_ll15HIP_vector_typeIjLj3EEmmmmmmmmm.uses_vcc, 1
	.set _ZL16k_get_rows_floatIf14__hip_bfloat16EvPKT_PKiPT0_ll15HIP_vector_typeIjLj3EEmmmmmmmmm.uses_flat_scratch, 0
	.set _ZL16k_get_rows_floatIf14__hip_bfloat16EvPKT_PKiPT0_ll15HIP_vector_typeIjLj3EEmmmmmmmmm.has_dyn_sized_stack, 0
	.set _ZL16k_get_rows_floatIf14__hip_bfloat16EvPKT_PKiPT0_ll15HIP_vector_typeIjLj3EEmmmmmmmmm.has_recursion, 0
	.set _ZL16k_get_rows_floatIf14__hip_bfloat16EvPKT_PKiPT0_ll15HIP_vector_typeIjLj3EEmmmmmmmmm.has_indirect_call, 0
	.section	.AMDGPU.csdata,"",@progbits
; Kernel info:
; codeLenInByte = 668
; TotalNumSgprs: 50
; NumVgprs: 18
; NumAgprs: 0
; TotalNumVgprs: 18
; ScratchSize: 0
; MemoryBound: 0
; FloatMode: 240
; IeeeMode: 1
; LDSByteSize: 0 bytes/workgroup (compile time only)
; SGPRBlocks: 6
; VGPRBlocks: 2
; NumSGPRsForWavesPerEU: 50
; NumVGPRsForWavesPerEU: 18
; AccumOffset: 20
; Occupancy: 8
; WaveLimiterHint : 1
; COMPUTE_PGM_RSRC2:SCRATCH_EN: 0
; COMPUTE_PGM_RSRC2:USER_SGPR: 2
; COMPUTE_PGM_RSRC2:TRAP_HANDLER: 0
; COMPUTE_PGM_RSRC2:TGID_X_EN: 1
; COMPUTE_PGM_RSRC2:TGID_Y_EN: 1
; COMPUTE_PGM_RSRC2:TGID_Z_EN: 1
; COMPUTE_PGM_RSRC2:TIDIG_COMP_CNT: 0
; COMPUTE_PGM_RSRC3_GFX90A:ACCUM_OFFSET: 4
; COMPUTE_PGM_RSRC3_GFX90A:TG_SPLIT: 0
	.section	.text._ZL16k_get_rows_floatIi14__hip_bfloat16EvPKT_PKiPT0_ll15HIP_vector_typeIjLj3EEmmmmmmmmm,"axG",@progbits,_ZL16k_get_rows_floatIi14__hip_bfloat16EvPKT_PKiPT0_ll15HIP_vector_typeIjLj3EEmmmmmmmmm,comdat
	.globl	_ZL16k_get_rows_floatIi14__hip_bfloat16EvPKT_PKiPT0_ll15HIP_vector_typeIjLj3EEmmmmmmmmm ; -- Begin function _ZL16k_get_rows_floatIi14__hip_bfloat16EvPKT_PKiPT0_ll15HIP_vector_typeIjLj3EEmmmmmmmmm
	.p2align	8
	.type	_ZL16k_get_rows_floatIi14__hip_bfloat16EvPKT_PKiPT0_ll15HIP_vector_typeIjLj3EEmmmmmmmmm,@function
_ZL16k_get_rows_floatIi14__hip_bfloat16EvPKT_PKiPT0_ll15HIP_vector_typeIjLj3EEmmmmmmmmm: ; @_ZL16k_get_rows_floatIi14__hip_bfloat16EvPKT_PKiPT0_ll15HIP_vector_typeIjLj3EEmmmmmmmmm
; %bb.0:
	s_load_dwordx2 s[8:9], s[0:1], 0x20
	s_load_dwordx2 s[6:7], s[0:1], 0x2c
	s_mov_b32 s5, 0
	v_mov_b64_e32 v[2:3], s[4:5]
	s_waitcnt lgkmcnt(0)
	s_mul_i32 s9, s9, s7
	s_mul_hi_u32 s10, s8, s7
	s_add_i32 s39, s10, s9
	s_mul_i32 s38, s8, s7
	v_cmp_le_i64_e32 vcc, s[38:39], v[2:3]
	s_cbranch_vccnz .LBB32_6
; %bb.1:
	s_load_dwordx8 s[24:31], s[0:1], 0x0
	s_load_dword s33, s[0:1], 0x28
	s_load_dwordx2 s[34:35], s[0:1], 0x78
	s_load_dwordx2 s[36:37], s[0:1], 0x88
	s_load_dwordx16 s[8:23], s[0:1], 0x38
	s_waitcnt lgkmcnt(0)
	v_mov_b32_e32 v4, s24
	s_add_u32 s24, s0, 0x80
	v_mov_b32_e32 v5, s25
	s_addc_u32 s25, s1, 0
	s_and_b32 s37, s37, 0xffff
	s_mul_i32 s3, s3, s37
	v_add_u32_e32 v0, s3, v0
	s_ashr_i32 s3, s2, 31
	s_mul_hi_u32 s40, s20, s2
	s_mul_i32 s41, s20, s3
	s_add_i32 s40, s40, s41
	s_mul_i32 s21, s21, s2
	s_add_i32 s21, s40, s21
	s_mul_i32 s20, s20, s2
	s_lshl_b64 s[20:21], s[20:21], 2
	s_add_u32 s40, s26, s20
	s_mul_hi_u32 s20, s8, s2
	s_mul_i32 s3, s8, s3
	s_addc_u32 s41, s27, s21
	s_add_i32 s3, s20, s3
	s_mul_i32 s9, s9, s2
	s_add_i32 s3, s3, s9
	s_mul_i32 s2, s8, s2
	s_lshl_b64 s[2:3], s[2:3], 1
	s_add_u32 s2, s28, s2
	v_mov_b32_e32 v1, 0
	s_addc_u32 s3, s29, s3
	v_cmp_gt_i64_e64 s[0:1], s[30:31], v[0:1]
	v_lshl_add_u64 v[2:3], v[0:1], 1, s[2:3]
	s_lshl_b64 s[2:3], s[10:11], 1
	s_lshl_b64 s[8:9], s[12:13], 1
	v_lshl_add_u64 v[4:5], v[0:1], 2, v[4:5]
	v_mov_b64_e32 v[6:7], s[38:39]
	s_mov_b64 s[10:11], s[4:5]
	s_branch .LBB32_3
.LBB32_2:                               ;   in Loop: Header=BB32_3 Depth=1
	s_or_b64 exec, exec, s[12:13]
	s_add_u32 s10, s10, s36
	s_addc_u32 s11, s11, 0
	v_cmp_lt_i64_e32 vcc, s[10:11], v[6:7]
	s_cbranch_vccz .LBB32_6
.LBB32_3:                               ; =>This Loop Header: Depth=1
                                        ;     Child Loop BB32_5 Depth 2
	s_and_saveexec_b64 s[12:13], s[0:1]
	s_cbranch_execz .LBB32_2
; %bb.4:                                ;   in Loop: Header=BB32_3 Depth=1
	s_mul_hi_u32 s4, s10, s33
	s_add_i32 s4, s4, s10
	s_lshr_b32 s28, s4, s6
	s_mul_i32 s4, s28, s7
	s_ashr_i32 s38, s28, 31
	s_sub_i32 s29, s10, s4
	s_mul_i32 s4, s22, s38
	s_mul_hi_u32 s20, s22, s28
	s_add_i32 s4, s20, s4
	s_mul_i32 s20, s23, s28
	s_ashr_i32 s39, s29, 31
	s_add_i32 s21, s4, s20
	s_mul_i32 s4, s34, s39
	s_mul_hi_u32 s26, s34, s29
	s_mul_i32 s20, s22, s28
	s_add_i32 s4, s26, s4
	s_mul_i32 s26, s35, s29
	s_add_i32 s27, s4, s26
	s_lshl_b64 s[20:21], s[20:21], 2
	s_mul_i32 s26, s34, s29
	s_add_u32 s4, s40, s20
	s_addc_u32 s42, s41, s21
	s_lshl_b64 s[20:21], s[26:27], 2
	s_load_dword s27, s[24:25], 0x4
	s_add_u32 s20, s4, s20
	s_mul_i32 s4, s16, s38
	s_mul_hi_u32 s26, s16, s28
	s_addc_u32 s21, s42, s21
	s_add_i32 s4, s26, s4
	s_mul_i32 s26, s17, s28
	s_add_i32 s42, s4, s26
	s_waitcnt lgkmcnt(0)
	s_mul_i32 s4, s27, s37
	s_mul_i32 s26, s2, s38
	s_mul_hi_u32 s27, s2, s28
	s_add_i32 s26, s27, s26
	s_mul_i32 s27, s3, s28
	s_mul_i32 s43, s16, s28
	s_add_i32 s27, s26, s27
	s_mul_i32 s26, s2, s28
	s_mul_i32 s28, s8, s39
	s_mul_hi_u32 s38, s8, s29
	s_add_i32 s28, s38, s28
	s_mul_i32 s38, s9, s29
	s_add_i32 s28, s28, s38
	s_mul_i32 s38, s8, s29
	s_add_u32 s26, s26, s38
	s_addc_u32 s27, s27, s28
	s_mul_i32 s28, s18, s39
	s_mul_hi_u32 s38, s18, s29
	s_add_i32 s28, s38, s28
	s_mul_i32 s38, s19, s29
	v_lshl_add_u64 v[8:9], v[2:3], 0, s[26:27]
	s_lshl_b64 s[26:27], s[4:5], 1
	s_add_i32 s38, s28, s38
	s_mul_i32 s28, s18, s29
	s_add_u32 s28, s43, s28
	s_addc_u32 s29, s42, s38
	v_lshl_add_u64 v[10:11], v[4:5], 0, s[28:29]
	s_lshl_b64 s[28:29], s[4:5], 2
	s_mov_b64 s[38:39], 0
	v_mov_b64_e32 v[12:13], v[0:1]
.LBB32_5:                               ;   Parent Loop BB32_3 Depth=1
                                        ; =>  This Inner Loop Header: Depth=2
	global_load_dword v14, v1, s[20:21]
	v_lshl_add_u64 v[12:13], v[12:13], 0, s[4:5]
	v_cmp_le_i64_e32 vcc, s[30:31], v[12:13]
	s_or_b64 s[38:39], vcc, s[38:39]
	s_waitcnt vmcnt(0)
	v_ashrrev_i32_e32 v16, 31, v14
	v_mul_lo_u32 v17, s15, v14
	v_mul_lo_u32 v16, s14, v16
	v_mad_u64_u32 v[14:15], s[42:43], s14, v14, v[10:11]
	v_add_u32_e32 v16, v16, v17
	v_add_u32_e32 v15, v16, v15
	global_load_dword v14, v[14:15], off
	v_lshl_add_u64 v[10:11], v[10:11], 0, s[28:29]
	s_waitcnt vmcnt(0)
	v_cvt_f32_i32_e32 v14, v14
	v_cvt_pk_bf16_f32 v14, v14, s0
	global_store_short v[8:9], v14, off
	v_lshl_add_u64 v[8:9], v[8:9], 0, s[26:27]
	s_andn2_b64 exec, exec, s[38:39]
	s_cbranch_execnz .LBB32_5
	s_branch .LBB32_2
.LBB32_6:
	s_endpgm
	.section	.rodata,"a",@progbits
	.p2align	6, 0x0
	.amdhsa_kernel _ZL16k_get_rows_floatIi14__hip_bfloat16EvPKT_PKiPT0_ll15HIP_vector_typeIjLj3EEmmmmmmmmm
		.amdhsa_group_segment_fixed_size 0
		.amdhsa_private_segment_fixed_size 0
		.amdhsa_kernarg_size 384
		.amdhsa_user_sgpr_count 2
		.amdhsa_user_sgpr_dispatch_ptr 0
		.amdhsa_user_sgpr_queue_ptr 0
		.amdhsa_user_sgpr_kernarg_segment_ptr 1
		.amdhsa_user_sgpr_dispatch_id 0
		.amdhsa_user_sgpr_kernarg_preload_length 0
		.amdhsa_user_sgpr_kernarg_preload_offset 0
		.amdhsa_user_sgpr_private_segment_size 0
		.amdhsa_uses_dynamic_stack 0
		.amdhsa_enable_private_segment 0
		.amdhsa_system_sgpr_workgroup_id_x 1
		.amdhsa_system_sgpr_workgroup_id_y 1
		.amdhsa_system_sgpr_workgroup_id_z 1
		.amdhsa_system_sgpr_workgroup_info 0
		.amdhsa_system_vgpr_workitem_id 0
		.amdhsa_next_free_vgpr 18
		.amdhsa_next_free_sgpr 44
		.amdhsa_accum_offset 20
		.amdhsa_reserve_vcc 1
		.amdhsa_float_round_mode_32 0
		.amdhsa_float_round_mode_16_64 0
		.amdhsa_float_denorm_mode_32 3
		.amdhsa_float_denorm_mode_16_64 3
		.amdhsa_dx10_clamp 1
		.amdhsa_ieee_mode 1
		.amdhsa_fp16_overflow 0
		.amdhsa_tg_split 0
		.amdhsa_exception_fp_ieee_invalid_op 0
		.amdhsa_exception_fp_denorm_src 0
		.amdhsa_exception_fp_ieee_div_zero 0
		.amdhsa_exception_fp_ieee_overflow 0
		.amdhsa_exception_fp_ieee_underflow 0
		.amdhsa_exception_fp_ieee_inexact 0
		.amdhsa_exception_int_div_zero 0
	.end_amdhsa_kernel
	.section	.text._ZL16k_get_rows_floatIi14__hip_bfloat16EvPKT_PKiPT0_ll15HIP_vector_typeIjLj3EEmmmmmmmmm,"axG",@progbits,_ZL16k_get_rows_floatIi14__hip_bfloat16EvPKT_PKiPT0_ll15HIP_vector_typeIjLj3EEmmmmmmmmm,comdat
.Lfunc_end32:
	.size	_ZL16k_get_rows_floatIi14__hip_bfloat16EvPKT_PKiPT0_ll15HIP_vector_typeIjLj3EEmmmmmmmmm, .Lfunc_end32-_ZL16k_get_rows_floatIi14__hip_bfloat16EvPKT_PKiPT0_ll15HIP_vector_typeIjLj3EEmmmmmmmmm
                                        ; -- End function
	.set _ZL16k_get_rows_floatIi14__hip_bfloat16EvPKT_PKiPT0_ll15HIP_vector_typeIjLj3EEmmmmmmmmm.num_vgpr, 18
	.set _ZL16k_get_rows_floatIi14__hip_bfloat16EvPKT_PKiPT0_ll15HIP_vector_typeIjLj3EEmmmmmmmmm.num_agpr, 0
	.set _ZL16k_get_rows_floatIi14__hip_bfloat16EvPKT_PKiPT0_ll15HIP_vector_typeIjLj3EEmmmmmmmmm.numbered_sgpr, 44
	.set _ZL16k_get_rows_floatIi14__hip_bfloat16EvPKT_PKiPT0_ll15HIP_vector_typeIjLj3EEmmmmmmmmm.num_named_barrier, 0
	.set _ZL16k_get_rows_floatIi14__hip_bfloat16EvPKT_PKiPT0_ll15HIP_vector_typeIjLj3EEmmmmmmmmm.private_seg_size, 0
	.set _ZL16k_get_rows_floatIi14__hip_bfloat16EvPKT_PKiPT0_ll15HIP_vector_typeIjLj3EEmmmmmmmmm.uses_vcc, 1
	.set _ZL16k_get_rows_floatIi14__hip_bfloat16EvPKT_PKiPT0_ll15HIP_vector_typeIjLj3EEmmmmmmmmm.uses_flat_scratch, 0
	.set _ZL16k_get_rows_floatIi14__hip_bfloat16EvPKT_PKiPT0_ll15HIP_vector_typeIjLj3EEmmmmmmmmm.has_dyn_sized_stack, 0
	.set _ZL16k_get_rows_floatIi14__hip_bfloat16EvPKT_PKiPT0_ll15HIP_vector_typeIjLj3EEmmmmmmmmm.has_recursion, 0
	.set _ZL16k_get_rows_floatIi14__hip_bfloat16EvPKT_PKiPT0_ll15HIP_vector_typeIjLj3EEmmmmmmmmm.has_indirect_call, 0
	.section	.AMDGPU.csdata,"",@progbits
; Kernel info:
; codeLenInByte = 672
; TotalNumSgprs: 50
; NumVgprs: 18
; NumAgprs: 0
; TotalNumVgprs: 18
; ScratchSize: 0
; MemoryBound: 0
; FloatMode: 240
; IeeeMode: 1
; LDSByteSize: 0 bytes/workgroup (compile time only)
; SGPRBlocks: 6
; VGPRBlocks: 2
; NumSGPRsForWavesPerEU: 50
; NumVGPRsForWavesPerEU: 18
; AccumOffset: 20
; Occupancy: 8
; WaveLimiterHint : 1
; COMPUTE_PGM_RSRC2:SCRATCH_EN: 0
; COMPUTE_PGM_RSRC2:USER_SGPR: 2
; COMPUTE_PGM_RSRC2:TRAP_HANDLER: 0
; COMPUTE_PGM_RSRC2:TGID_X_EN: 1
; COMPUTE_PGM_RSRC2:TGID_Y_EN: 1
; COMPUTE_PGM_RSRC2:TGID_Z_EN: 1
; COMPUTE_PGM_RSRC2:TIDIG_COMP_CNT: 0
; COMPUTE_PGM_RSRC3_GFX90A:ACCUM_OFFSET: 4
; COMPUTE_PGM_RSRC3_GFX90A:TG_SPLIT: 0
	.section	.text._ZL16k_get_rows_floatI14__hip_bfloat16S0_EvPKT_PKiPT0_ll15HIP_vector_typeIjLj3EEmmmmmmmmm,"axG",@progbits,_ZL16k_get_rows_floatI14__hip_bfloat16S0_EvPKT_PKiPT0_ll15HIP_vector_typeIjLj3EEmmmmmmmmm,comdat
	.globl	_ZL16k_get_rows_floatI14__hip_bfloat16S0_EvPKT_PKiPT0_ll15HIP_vector_typeIjLj3EEmmmmmmmmm ; -- Begin function _ZL16k_get_rows_floatI14__hip_bfloat16S0_EvPKT_PKiPT0_ll15HIP_vector_typeIjLj3EEmmmmmmmmm
	.p2align	8
	.type	_ZL16k_get_rows_floatI14__hip_bfloat16S0_EvPKT_PKiPT0_ll15HIP_vector_typeIjLj3EEmmmmmmmmm,@function
_ZL16k_get_rows_floatI14__hip_bfloat16S0_EvPKT_PKiPT0_ll15HIP_vector_typeIjLj3EEmmmmmmmmm: ; @_ZL16k_get_rows_floatI14__hip_bfloat16S0_EvPKT_PKiPT0_ll15HIP_vector_typeIjLj3EEmmmmmmmmm
; %bb.0:
	s_load_dwordx2 s[8:9], s[0:1], 0x20
	s_load_dwordx2 s[6:7], s[0:1], 0x2c
	s_mov_b32 s5, 0
	v_mov_b64_e32 v[2:3], s[4:5]
	s_waitcnt lgkmcnt(0)
	s_mul_i32 s9, s9, s7
	s_mul_hi_u32 s10, s8, s7
	s_add_i32 s41, s10, s9
	s_mul_i32 s40, s8, s7
	v_cmp_le_i64_e32 vcc, s[40:41], v[2:3]
	s_cbranch_vccnz .LBB33_6
; %bb.1:
	s_load_dwordx8 s[24:31], s[0:1], 0x0
	s_load_dwordx2 s[34:35], s[0:1], 0x78
	s_load_dwordx2 s[36:37], s[0:1], 0x88
	s_load_dword s33, s[0:1], 0x28
	s_load_dwordx16 s[8:23], s[0:1], 0x38
	s_add_u32 s38, s0, 0x80
	s_addc_u32 s39, s1, 0
	s_waitcnt lgkmcnt(0)
	s_and_b32 s37, s37, 0xffff
	s_mul_i32 s3, s3, s37
	v_add_u32_e32 v0, s3, v0
	s_ashr_i32 s3, s2, 31
	s_mul_hi_u32 s42, s20, s2
	s_mul_i32 s43, s20, s3
	s_add_i32 s42, s42, s43
	s_mul_i32 s21, s21, s2
	s_add_i32 s21, s42, s21
	s_mul_i32 s20, s20, s2
	s_lshl_b64 s[20:21], s[20:21], 2
	s_add_u32 s42, s26, s20
	s_mul_hi_u32 s20, s8, s2
	s_mul_i32 s3, s8, s3
	s_addc_u32 s43, s27, s21
	s_add_i32 s3, s20, s3
	s_mul_i32 s9, s9, s2
	s_add_i32 s3, s3, s9
	s_mul_i32 s2, s8, s2
	s_lshl_b64 s[2:3], s[2:3], 1
	v_mov_b32_e32 v1, 0
	s_add_u32 s2, s28, s2
	v_lshlrev_b64 v[4:5], 1, v[0:1]
	s_addc_u32 s3, s29, s3
	v_cmp_gt_i64_e64 s[0:1], s[30:31], v[0:1]
	v_lshl_add_u64 v[2:3], s[2:3], 0, v[4:5]
	s_lshl_b64 s[2:3], s[10:11], 1
	s_lshl_b64 s[8:9], s[12:13], 1
	v_lshl_add_u64 v[4:5], s[24:25], 0, v[4:5]
	v_mov_b64_e32 v[6:7], s[40:41]
	s_mov_b64 s[10:11], s[4:5]
	s_branch .LBB33_3
.LBB33_2:                               ;   in Loop: Header=BB33_3 Depth=1
	s_or_b64 exec, exec, s[12:13]
	s_add_u32 s10, s10, s36
	s_addc_u32 s11, s11, 0
	v_cmp_lt_i64_e32 vcc, s[10:11], v[6:7]
	s_cbranch_vccz .LBB33_6
.LBB33_3:                               ; =>This Loop Header: Depth=1
                                        ;     Child Loop BB33_5 Depth 2
	s_and_saveexec_b64 s[12:13], s[0:1]
	s_cbranch_execz .LBB33_2
; %bb.4:                                ;   in Loop: Header=BB33_3 Depth=1
	s_mul_hi_u32 s4, s10, s33
	s_add_i32 s4, s4, s10
	s_lshr_b32 s26, s4, s6
	s_mul_i32 s4, s26, s7
	s_ashr_i32 s28, s26, 31
	s_sub_i32 s27, s10, s4
	s_mul_i32 s4, s22, s28
	s_mul_hi_u32 s20, s22, s26
	s_add_i32 s4, s20, s4
	s_mul_i32 s20, s23, s26
	s_ashr_i32 s29, s27, 31
	s_add_i32 s21, s4, s20
	s_mul_i32 s4, s34, s29
	s_mul_hi_u32 s24, s34, s27
	s_mul_i32 s20, s22, s26
	s_add_i32 s4, s24, s4
	s_mul_i32 s24, s35, s27
	s_add_i32 s25, s4, s24
	s_lshl_b64 s[20:21], s[20:21], 2
	s_mul_i32 s24, s34, s27
	s_add_u32 s4, s42, s20
	s_addc_u32 s40, s43, s21
	s_lshl_b64 s[20:21], s[24:25], 2
	s_load_dword s25, s[38:39], 0x4
	s_add_u32 s20, s4, s20
	s_mul_i32 s4, s16, s28
	s_mul_hi_u32 s24, s16, s26
	s_addc_u32 s21, s40, s21
	s_add_i32 s4, s24, s4
	s_mul_i32 s24, s17, s26
	s_add_i32 s40, s4, s24
	s_waitcnt lgkmcnt(0)
	s_mul_i32 s4, s25, s37
	s_mul_i32 s24, s2, s28
	s_mul_hi_u32 s25, s2, s26
	s_add_i32 s24, s25, s24
	s_mul_i32 s25, s3, s26
	s_mul_i32 s41, s16, s26
	s_add_i32 s25, s24, s25
	s_mul_i32 s24, s2, s26
	s_mul_i32 s26, s8, s29
	s_mul_hi_u32 s28, s8, s27
	s_add_i32 s26, s28, s26
	s_mul_i32 s28, s9, s27
	s_add_i32 s26, s26, s28
	s_mul_i32 s28, s8, s27
	s_add_u32 s24, s24, s28
	s_addc_u32 s25, s25, s26
	s_mul_i32 s26, s18, s29
	s_mul_hi_u32 s28, s18, s27
	s_add_i32 s26, s28, s26
	s_mul_i32 s28, s19, s27
	v_lshl_add_u64 v[8:9], v[2:3], 0, s[24:25]
	s_lshl_b64 s[24:25], s[4:5], 1
	s_add_i32 s28, s26, s28
	s_mul_i32 s26, s18, s27
	s_add_u32 s26, s41, s26
	s_addc_u32 s27, s40, s28
	v_lshl_add_u64 v[10:11], v[4:5], 0, s[26:27]
	s_mov_b64 s[26:27], 0
	s_mov_b64 s[28:29], 0
	v_mov_b64_e32 v[12:13], v[0:1]
.LBB33_5:                               ;   Parent Loop BB33_3 Depth=1
                                        ; =>  This Inner Loop Header: Depth=2
	global_load_dword v14, v1, s[20:21]
	v_lshl_add_u64 v[12:13], v[12:13], 0, s[4:5]
	v_cmp_le_i64_e32 vcc, s[30:31], v[12:13]
	s_waitcnt vmcnt(0)
	v_ashrrev_i32_e32 v15, 31, v14
	v_mul_hi_u32 v16, s14, v14
	v_mul_lo_u32 v15, s14, v15
	v_mul_lo_u32 v17, s15, v14
	v_add_u32_e32 v15, v16, v15
	v_mul_lo_u32 v14, s14, v14
	v_add_u32_e32 v15, v15, v17
	v_lshl_add_u64 v[14:15], s[28:29], 0, v[14:15]
	v_lshl_add_u64 v[14:15], v[10:11], 0, v[14:15]
	global_load_ushort v16, v[14:15], off
	v_lshl_add_u64 v[14:15], v[8:9], 0, s[28:29]
	s_add_u32 s28, s28, s24
	s_addc_u32 s29, s29, s25
	s_or_b64 s[26:27], vcc, s[26:27]
	s_waitcnt vmcnt(0)
	global_store_short v[14:15], v16, off
	s_andn2_b64 exec, exec, s[26:27]
	s_cbranch_execnz .LBB33_5
	s_branch .LBB33_2
.LBB33_6:
	s_endpgm
	.section	.rodata,"a",@progbits
	.p2align	6, 0x0
	.amdhsa_kernel _ZL16k_get_rows_floatI14__hip_bfloat16S0_EvPKT_PKiPT0_ll15HIP_vector_typeIjLj3EEmmmmmmmmm
		.amdhsa_group_segment_fixed_size 0
		.amdhsa_private_segment_fixed_size 0
		.amdhsa_kernarg_size 384
		.amdhsa_user_sgpr_count 2
		.amdhsa_user_sgpr_dispatch_ptr 0
		.amdhsa_user_sgpr_queue_ptr 0
		.amdhsa_user_sgpr_kernarg_segment_ptr 1
		.amdhsa_user_sgpr_dispatch_id 0
		.amdhsa_user_sgpr_kernarg_preload_length 0
		.amdhsa_user_sgpr_kernarg_preload_offset 0
		.amdhsa_user_sgpr_private_segment_size 0
		.amdhsa_uses_dynamic_stack 0
		.amdhsa_enable_private_segment 0
		.amdhsa_system_sgpr_workgroup_id_x 1
		.amdhsa_system_sgpr_workgroup_id_y 1
		.amdhsa_system_sgpr_workgroup_id_z 1
		.amdhsa_system_sgpr_workgroup_info 0
		.amdhsa_system_vgpr_workitem_id 0
		.amdhsa_next_free_vgpr 18
		.amdhsa_next_free_sgpr 44
		.amdhsa_accum_offset 20
		.amdhsa_reserve_vcc 1
		.amdhsa_float_round_mode_32 0
		.amdhsa_float_round_mode_16_64 0
		.amdhsa_float_denorm_mode_32 3
		.amdhsa_float_denorm_mode_16_64 3
		.amdhsa_dx10_clamp 1
		.amdhsa_ieee_mode 1
		.amdhsa_fp16_overflow 0
		.amdhsa_tg_split 0
		.amdhsa_exception_fp_ieee_invalid_op 0
		.amdhsa_exception_fp_denorm_src 0
		.amdhsa_exception_fp_ieee_div_zero 0
		.amdhsa_exception_fp_ieee_overflow 0
		.amdhsa_exception_fp_ieee_underflow 0
		.amdhsa_exception_fp_ieee_inexact 0
		.amdhsa_exception_int_div_zero 0
	.end_amdhsa_kernel
	.section	.text._ZL16k_get_rows_floatI14__hip_bfloat16S0_EvPKT_PKiPT0_ll15HIP_vector_typeIjLj3EEmmmmmmmmm,"axG",@progbits,_ZL16k_get_rows_floatI14__hip_bfloat16S0_EvPKT_PKiPT0_ll15HIP_vector_typeIjLj3EEmmmmmmmmm,comdat
.Lfunc_end33:
	.size	_ZL16k_get_rows_floatI14__hip_bfloat16S0_EvPKT_PKiPT0_ll15HIP_vector_typeIjLj3EEmmmmmmmmm, .Lfunc_end33-_ZL16k_get_rows_floatI14__hip_bfloat16S0_EvPKT_PKiPT0_ll15HIP_vector_typeIjLj3EEmmmmmmmmm
                                        ; -- End function
	.set _ZL16k_get_rows_floatI14__hip_bfloat16S0_EvPKT_PKiPT0_ll15HIP_vector_typeIjLj3EEmmmmmmmmm.num_vgpr, 18
	.set _ZL16k_get_rows_floatI14__hip_bfloat16S0_EvPKT_PKiPT0_ll15HIP_vector_typeIjLj3EEmmmmmmmmm.num_agpr, 0
	.set _ZL16k_get_rows_floatI14__hip_bfloat16S0_EvPKT_PKiPT0_ll15HIP_vector_typeIjLj3EEmmmmmmmmm.numbered_sgpr, 44
	.set _ZL16k_get_rows_floatI14__hip_bfloat16S0_EvPKT_PKiPT0_ll15HIP_vector_typeIjLj3EEmmmmmmmmm.num_named_barrier, 0
	.set _ZL16k_get_rows_floatI14__hip_bfloat16S0_EvPKT_PKiPT0_ll15HIP_vector_typeIjLj3EEmmmmmmmmm.private_seg_size, 0
	.set _ZL16k_get_rows_floatI14__hip_bfloat16S0_EvPKT_PKiPT0_ll15HIP_vector_typeIjLj3EEmmmmmmmmm.uses_vcc, 1
	.set _ZL16k_get_rows_floatI14__hip_bfloat16S0_EvPKT_PKiPT0_ll15HIP_vector_typeIjLj3EEmmmmmmmmm.uses_flat_scratch, 0
	.set _ZL16k_get_rows_floatI14__hip_bfloat16S0_EvPKT_PKiPT0_ll15HIP_vector_typeIjLj3EEmmmmmmmmm.has_dyn_sized_stack, 0
	.set _ZL16k_get_rows_floatI14__hip_bfloat16S0_EvPKT_PKiPT0_ll15HIP_vector_typeIjLj3EEmmmmmmmmm.has_recursion, 0
	.set _ZL16k_get_rows_floatI14__hip_bfloat16S0_EvPKT_PKiPT0_ll15HIP_vector_typeIjLj3EEmmmmmmmmm.has_indirect_call, 0
	.section	.AMDGPU.csdata,"",@progbits
; Kernel info:
; codeLenInByte = 684
; TotalNumSgprs: 50
; NumVgprs: 18
; NumAgprs: 0
; TotalNumVgprs: 18
; ScratchSize: 0
; MemoryBound: 0
; FloatMode: 240
; IeeeMode: 1
; LDSByteSize: 0 bytes/workgroup (compile time only)
; SGPRBlocks: 6
; VGPRBlocks: 2
; NumSGPRsForWavesPerEU: 50
; NumVGPRsForWavesPerEU: 18
; AccumOffset: 20
; Occupancy: 8
; WaveLimiterHint : 1
; COMPUTE_PGM_RSRC2:SCRATCH_EN: 0
; COMPUTE_PGM_RSRC2:USER_SGPR: 2
; COMPUTE_PGM_RSRC2:TRAP_HANDLER: 0
; COMPUTE_PGM_RSRC2:TGID_X_EN: 1
; COMPUTE_PGM_RSRC2:TGID_Y_EN: 1
; COMPUTE_PGM_RSRC2:TGID_Z_EN: 1
; COMPUTE_PGM_RSRC2:TIDIG_COMP_CNT: 0
; COMPUTE_PGM_RSRC3_GFX90A:ACCUM_OFFSET: 4
; COMPUTE_PGM_RSRC3_GFX90A:TG_SPLIT: 0
	.section	.text._ZL10k_get_rowsILi128ELi1EXadL_ZL15dequantize_q1_0PKvliR15HIP_vector_typeIfLj2EEEE14__hip_bfloat16EvS1_PKiPT2_llS2_IjLj3EEmmmmmmmmm,"axG",@progbits,_ZL10k_get_rowsILi128ELi1EXadL_ZL15dequantize_q1_0PKvliR15HIP_vector_typeIfLj2EEEE14__hip_bfloat16EvS1_PKiPT2_llS2_IjLj3EEmmmmmmmmm,comdat
	.globl	_ZL10k_get_rowsILi128ELi1EXadL_ZL15dequantize_q1_0PKvliR15HIP_vector_typeIfLj2EEEE14__hip_bfloat16EvS1_PKiPT2_llS2_IjLj3EEmmmmmmmmm ; -- Begin function _ZL10k_get_rowsILi128ELi1EXadL_ZL15dequantize_q1_0PKvliR15HIP_vector_typeIfLj2EEEE14__hip_bfloat16EvS1_PKiPT2_llS2_IjLj3EEmmmmmmmmm
	.p2align	8
	.type	_ZL10k_get_rowsILi128ELi1EXadL_ZL15dequantize_q1_0PKvliR15HIP_vector_typeIfLj2EEEE14__hip_bfloat16EvS1_PKiPT2_llS2_IjLj3EEmmmmmmmmm,@function
_ZL10k_get_rowsILi128ELi1EXadL_ZL15dequantize_q1_0PKvliR15HIP_vector_typeIfLj2EEEE14__hip_bfloat16EvS1_PKiPT2_llS2_IjLj3EEmmmmmmmmm: ; @_ZL10k_get_rowsILi128ELi1EXadL_ZL15dequantize_q1_0PKvliR15HIP_vector_typeIfLj2EEEE14__hip_bfloat16EvS1_PKiPT2_llS2_IjLj3EEmmmmmmmmm
; %bb.0:
	s_load_dwordx4 s[24:27], s[0:1], 0x18
	s_load_dwordx2 s[6:7], s[0:1], 0x2c
	s_mov_b32 s5, 0
	v_mov_b64_e32 v[2:3], s[4:5]
	s_waitcnt lgkmcnt(0)
	s_mul_i32 s8, s27, s7
	s_mul_hi_u32 s9, s26, s7
	s_add_i32 s39, s9, s8
	s_mul_i32 s38, s26, s7
	v_cmp_le_i64_e32 vcc, s[38:39], v[2:3]
	s_cbranch_vccnz .LBB34_6
; %bb.1:
	s_load_dwordx4 s[28:31], s[0:1], 0x0
	s_load_dwordx2 s[40:41], s[0:1], 0x10
	s_load_dwordx2 s[26:27], s[0:1], 0x78
	;; [unrolled: 1-line block ×3, first 2 shown]
	s_load_dword s33, s[0:1], 0x28
	s_load_dwordx16 s[8:23], s[0:1], 0x38
	s_add_u32 s36, s0, 0x80
	s_addc_u32 s37, s1, 0
	s_waitcnt lgkmcnt(0)
	s_and_b32 s35, s35, 0xffff
	s_mul_i32 s3, s3, s35
	v_add_lshl_u32 v0, s3, v0, 1
	s_ashr_i32 s3, s2, 31
	s_mul_hi_u32 s42, s20, s2
	s_mul_i32 s43, s20, s3
	s_add_i32 s42, s42, s43
	s_mul_i32 s21, s21, s2
	s_add_i32 s21, s42, s21
	s_mul_i32 s20, s20, s2
	s_lshl_b64 s[20:21], s[20:21], 2
	s_add_u32 s44, s30, s20
	s_mul_hi_u32 s20, s8, s2
	s_mul_i32 s3, s8, s3
	s_addc_u32 s45, s31, s21
	s_add_i32 s3, s20, s3
	s_mul_i32 s9, s9, s2
	s_add_i32 s3, s3, s9
	s_mul_i32 s2, s8, s2
	s_lshl_b64 s[2:3], s[2:3], 1
	v_mov_b32_e32 v1, 0
	s_add_u32 s46, s40, s2
	v_mov_b64_e32 v[2:3], v[0:1]
	v_cmp_gt_i64_e64 s[0:1], s[24:25], v[0:1]
	s_addc_u32 s47, s41, s3
	v_lshlrev_b64 v[4:5], 25, v[0:1]
	v_mov_b32_e32 v6, v1
	v_mov_b32_e32 v7, v0
	v_mov_b64_e32 v[8:9], s[38:39]
	s_mov_b64 s[2:3], s[4:5]
	s_branch .LBB34_3
.LBB34_2:                               ;   in Loop: Header=BB34_3 Depth=1
	s_or_b64 exec, exec, s[8:9]
	s_add_u32 s2, s2, s34
	s_addc_u32 s3, s3, 0
	v_cmp_ge_i64_e32 vcc, s[2:3], v[8:9]
	s_cbranch_vccnz .LBB34_6
.LBB34_3:                               ; =>This Loop Header: Depth=1
                                        ;     Child Loop BB34_5 Depth 2
	s_and_saveexec_b64 s[8:9], s[0:1]
	s_cbranch_execz .LBB34_2
; %bb.4:                                ;   in Loop: Header=BB34_3 Depth=1
	s_mul_hi_u32 s4, s2, s33
	s_add_i32 s4, s4, s2
	s_lshr_b32 s4, s4, s6
	s_mul_i32 s20, s4, s7
	s_sub_i32 s38, s2, s20
	s_ashr_i32 s39, s4, 31
	s_mul_i32 s20, s22, s39
	s_mul_hi_u32 s21, s22, s4
	s_ashr_i32 s40, s38, 31
	s_add_i32 s20, s21, s20
	s_mul_i32 s21, s23, s4
	s_mul_i32 s30, s26, s40
	s_mul_hi_u32 s31, s26, s38
	s_add_i32 s21, s20, s21
	s_mul_i32 s20, s22, s4
	s_add_i32 s30, s31, s30
	s_mul_i32 s31, s27, s38
	s_add_i32 s31, s30, s31
	s_lshl_b64 s[20:21], s[20:21], 2
	s_mul_i32 s30, s26, s38
	s_add_u32 s41, s44, s20
	s_addc_u32 s42, s45, s21
	s_lshl_b64 s[20:21], s[30:31], 2
	s_add_u32 s20, s41, s20
	s_addc_u32 s21, s42, s21
	s_load_dword s30, s[20:21], 0x0
	s_mul_i32 s20, s10, s39
	s_mul_hi_u32 s21, s10, s4
	s_add_i32 s20, s21, s20
	s_mul_i32 s21, s11, s4
	s_add_i32 s21, s20, s21
	s_mul_i32 s20, s10, s4
	s_waitcnt lgkmcnt(0)
	s_ashr_i32 s31, s30, 31
	s_lshl_b64 s[20:21], s[20:21], 1
	s_add_u32 s41, s46, s20
	s_addc_u32 s42, s47, s21
	s_mul_i32 s20, s12, s40
	s_mul_hi_u32 s21, s12, s38
	s_add_i32 s20, s21, s20
	s_mul_i32 s21, s13, s38
	s_add_i32 s21, s20, s21
	s_mul_i32 s20, s12, s38
	s_lshl_b64 s[20:21], s[20:21], 1
	s_add_u32 s20, s41, s20
	s_mul_i32 s31, s14, s31
	s_mul_hi_u32 s41, s14, s30
	s_addc_u32 s21, s42, s21
	s_add_i32 s31, s41, s31
	s_mul_i32 s41, s15, s30
	s_add_i32 s31, s31, s41
	s_mul_i32 s30, s14, s30
	s_add_u32 s30, s28, s30
	s_mul_i32 s39, s16, s39
	s_mul_hi_u32 s41, s16, s4
	s_addc_u32 s31, s29, s31
	s_add_i32 s39, s41, s39
	s_mul_i32 s41, s17, s4
	s_add_i32 s39, s39, s41
	s_mul_i32 s4, s16, s4
	s_add_u32 s4, s30, s4
	s_mul_i32 s30, s18, s40
	s_load_dword s40, s[36:37], 0x4
	s_addc_u32 s31, s31, s39
	s_mul_hi_u32 s39, s18, s38
	s_add_i32 s30, s39, s30
	s_mul_i32 s39, s19, s38
	s_add_i32 s39, s30, s39
	s_mul_i32 s30, s18, s38
	s_add_u32 s30, s4, s30
	s_waitcnt lgkmcnt(0)
	s_mul_i32 s4, s40, s35
	s_addc_u32 s31, s31, s39
	s_lshl_b64 s[38:39], s[4:5], 25
	s_mov_b32 s40, s5
	s_mov_b32 s41, s4
	s_mov_b64 s[42:43], 0
	v_mov_b64_e32 v[10:11], v[6:7]
	v_mov_b64_e32 v[12:13], v[4:5]
	;; [unrolled: 1-line block ×3, first 2 shown]
.LBB34_5:                               ;   Parent Loop BB34_3 Depth=1
                                        ; =>  This Inner Loop Header: Depth=2
	v_and_b32_e32 v18, 0x7f, v14
	v_mad_i64_i32 v[16:17], s[48:49], v13, 18, s[30:31]
	v_bfe_u32 v0, v14, 3, 4
	v_add_u32_e32 v23, 1, v18
	v_mov_b32_e32 v19, v1
	v_lshl_add_u64 v[20:21], v[16:17], 0, v[0:1]
	v_lshrrev_b32_e32 v18, 3, v23
	global_load_ushort v22, v[16:17], off
	global_load_ubyte v0, v[20:21], off offset:2
	v_lshl_add_u64 v[16:17], v[16:17], 0, v[18:19]
	global_load_ubyte v18, v[16:17], off offset:2
	v_and_b32_e32 v19, 7, v14
	v_and_b32_e32 v20, 7, v23
	v_lshl_add_u64 v[14:15], v[14:15], 0, s[4:5]
	v_ashrrev_i64 v[16:17], 31, v[10:11]
	v_cmp_le_i64_e32 vcc, s[24:25], v[14:15]
	v_lshl_add_u64 v[12:13], v[12:13], 0, s[38:39]
	v_lshl_add_u64 v[10:11], v[10:11], 0, s[40:41]
	;; [unrolled: 1-line block ×3, first 2 shown]
	s_or_b64 s[42:43], vcc, s[42:43]
	s_waitcnt vmcnt(2)
	v_cvt_f32_f16_e32 v21, v22
	s_waitcnt vmcnt(1)
	v_lshrrev_b32_e32 v0, v19, v0
	v_lshlrev_b32_e32 v0, 1, v0
	s_waitcnt vmcnt(0)
	v_lshrrev_b32_e32 v18, v20, v18
	v_lshlrev_b32_e32 v18, 1, v18
	v_and_b32_e32 v0, 2, v0
	v_and_b32_e32 v18, 2, v18
	v_add_u32_e32 v0, -1, v0
	v_add_u32_e32 v18, -1, v18
	v_cvt_f32_i32_e32 v0, v0
	v_cvt_f32_i32_e32 v18, v18
	v_mul_f32_e32 v0, v21, v0
	v_mul_f32_e32 v18, v21, v18
	v_cvt_pk_bf16_f32 v0, v0, v18
	global_store_dword v[16:17], v0, off
	s_andn2_b64 exec, exec, s[42:43]
	s_cbranch_execnz .LBB34_5
	s_branch .LBB34_2
.LBB34_6:
	s_endpgm
	.section	.rodata,"a",@progbits
	.p2align	6, 0x0
	.amdhsa_kernel _ZL10k_get_rowsILi128ELi1EXadL_ZL15dequantize_q1_0PKvliR15HIP_vector_typeIfLj2EEEE14__hip_bfloat16EvS1_PKiPT2_llS2_IjLj3EEmmmmmmmmm
		.amdhsa_group_segment_fixed_size 0
		.amdhsa_private_segment_fixed_size 0
		.amdhsa_kernarg_size 384
		.amdhsa_user_sgpr_count 2
		.amdhsa_user_sgpr_dispatch_ptr 0
		.amdhsa_user_sgpr_queue_ptr 0
		.amdhsa_user_sgpr_kernarg_segment_ptr 1
		.amdhsa_user_sgpr_dispatch_id 0
		.amdhsa_user_sgpr_kernarg_preload_length 0
		.amdhsa_user_sgpr_kernarg_preload_offset 0
		.amdhsa_user_sgpr_private_segment_size 0
		.amdhsa_uses_dynamic_stack 0
		.amdhsa_enable_private_segment 0
		.amdhsa_system_sgpr_workgroup_id_x 1
		.amdhsa_system_sgpr_workgroup_id_y 1
		.amdhsa_system_sgpr_workgroup_id_z 1
		.amdhsa_system_sgpr_workgroup_info 0
		.amdhsa_system_vgpr_workitem_id 0
		.amdhsa_next_free_vgpr 24
		.amdhsa_next_free_sgpr 50
		.amdhsa_accum_offset 24
		.amdhsa_reserve_vcc 1
		.amdhsa_float_round_mode_32 0
		.amdhsa_float_round_mode_16_64 0
		.amdhsa_float_denorm_mode_32 3
		.amdhsa_float_denorm_mode_16_64 3
		.amdhsa_dx10_clamp 1
		.amdhsa_ieee_mode 1
		.amdhsa_fp16_overflow 0
		.amdhsa_tg_split 0
		.amdhsa_exception_fp_ieee_invalid_op 0
		.amdhsa_exception_fp_denorm_src 0
		.amdhsa_exception_fp_ieee_div_zero 0
		.amdhsa_exception_fp_ieee_overflow 0
		.amdhsa_exception_fp_ieee_underflow 0
		.amdhsa_exception_fp_ieee_inexact 0
		.amdhsa_exception_int_div_zero 0
	.end_amdhsa_kernel
	.section	.text._ZL10k_get_rowsILi128ELi1EXadL_ZL15dequantize_q1_0PKvliR15HIP_vector_typeIfLj2EEEE14__hip_bfloat16EvS1_PKiPT2_llS2_IjLj3EEmmmmmmmmm,"axG",@progbits,_ZL10k_get_rowsILi128ELi1EXadL_ZL15dequantize_q1_0PKvliR15HIP_vector_typeIfLj2EEEE14__hip_bfloat16EvS1_PKiPT2_llS2_IjLj3EEmmmmmmmmm,comdat
.Lfunc_end34:
	.size	_ZL10k_get_rowsILi128ELi1EXadL_ZL15dequantize_q1_0PKvliR15HIP_vector_typeIfLj2EEEE14__hip_bfloat16EvS1_PKiPT2_llS2_IjLj3EEmmmmmmmmm, .Lfunc_end34-_ZL10k_get_rowsILi128ELi1EXadL_ZL15dequantize_q1_0PKvliR15HIP_vector_typeIfLj2EEEE14__hip_bfloat16EvS1_PKiPT2_llS2_IjLj3EEmmmmmmmmm
                                        ; -- End function
	.set _ZL10k_get_rowsILi128ELi1EXadL_ZL15dequantize_q1_0PKvliR15HIP_vector_typeIfLj2EEEE14__hip_bfloat16EvS1_PKiPT2_llS2_IjLj3EEmmmmmmmmm.num_vgpr, 24
	.set _ZL10k_get_rowsILi128ELi1EXadL_ZL15dequantize_q1_0PKvliR15HIP_vector_typeIfLj2EEEE14__hip_bfloat16EvS1_PKiPT2_llS2_IjLj3EEmmmmmmmmm.num_agpr, 0
	.set _ZL10k_get_rowsILi128ELi1EXadL_ZL15dequantize_q1_0PKvliR15HIP_vector_typeIfLj2EEEE14__hip_bfloat16EvS1_PKiPT2_llS2_IjLj3EEmmmmmmmmm.numbered_sgpr, 50
	.set _ZL10k_get_rowsILi128ELi1EXadL_ZL15dequantize_q1_0PKvliR15HIP_vector_typeIfLj2EEEE14__hip_bfloat16EvS1_PKiPT2_llS2_IjLj3EEmmmmmmmmm.num_named_barrier, 0
	.set _ZL10k_get_rowsILi128ELi1EXadL_ZL15dequantize_q1_0PKvliR15HIP_vector_typeIfLj2EEEE14__hip_bfloat16EvS1_PKiPT2_llS2_IjLj3EEmmmmmmmmm.private_seg_size, 0
	.set _ZL10k_get_rowsILi128ELi1EXadL_ZL15dequantize_q1_0PKvliR15HIP_vector_typeIfLj2EEEE14__hip_bfloat16EvS1_PKiPT2_llS2_IjLj3EEmmmmmmmmm.uses_vcc, 1
	.set _ZL10k_get_rowsILi128ELi1EXadL_ZL15dequantize_q1_0PKvliR15HIP_vector_typeIfLj2EEEE14__hip_bfloat16EvS1_PKiPT2_llS2_IjLj3EEmmmmmmmmm.uses_flat_scratch, 0
	.set _ZL10k_get_rowsILi128ELi1EXadL_ZL15dequantize_q1_0PKvliR15HIP_vector_typeIfLj2EEEE14__hip_bfloat16EvS1_PKiPT2_llS2_IjLj3EEmmmmmmmmm.has_dyn_sized_stack, 0
	.set _ZL10k_get_rowsILi128ELi1EXadL_ZL15dequantize_q1_0PKvliR15HIP_vector_typeIfLj2EEEE14__hip_bfloat16EvS1_PKiPT2_llS2_IjLj3EEmmmmmmmmm.has_recursion, 0
	.set _ZL10k_get_rowsILi128ELi1EXadL_ZL15dequantize_q1_0PKvliR15HIP_vector_typeIfLj2EEEE14__hip_bfloat16EvS1_PKiPT2_llS2_IjLj3EEmmmmmmmmm.has_indirect_call, 0
	.section	.AMDGPU.csdata,"",@progbits
; Kernel info:
; codeLenInByte = 840
; TotalNumSgprs: 56
; NumVgprs: 24
; NumAgprs: 0
; TotalNumVgprs: 24
; ScratchSize: 0
; MemoryBound: 0
; FloatMode: 240
; IeeeMode: 1
; LDSByteSize: 0 bytes/workgroup (compile time only)
; SGPRBlocks: 6
; VGPRBlocks: 2
; NumSGPRsForWavesPerEU: 56
; NumVGPRsForWavesPerEU: 24
; AccumOffset: 24
; Occupancy: 8
; WaveLimiterHint : 1
; COMPUTE_PGM_RSRC2:SCRATCH_EN: 0
; COMPUTE_PGM_RSRC2:USER_SGPR: 2
; COMPUTE_PGM_RSRC2:TRAP_HANDLER: 0
; COMPUTE_PGM_RSRC2:TGID_X_EN: 1
; COMPUTE_PGM_RSRC2:TGID_Y_EN: 1
; COMPUTE_PGM_RSRC2:TGID_Z_EN: 1
; COMPUTE_PGM_RSRC2:TIDIG_COMP_CNT: 0
; COMPUTE_PGM_RSRC3_GFX90A:ACCUM_OFFSET: 5
; COMPUTE_PGM_RSRC3_GFX90A:TG_SPLIT: 0
	.section	.text._ZL10k_get_rowsILi32ELi2EXadL_ZL15dequantize_q4_0PKvliR15HIP_vector_typeIfLj2EEEE14__hip_bfloat16EvS1_PKiPT2_llS2_IjLj3EEmmmmmmmmm,"axG",@progbits,_ZL10k_get_rowsILi32ELi2EXadL_ZL15dequantize_q4_0PKvliR15HIP_vector_typeIfLj2EEEE14__hip_bfloat16EvS1_PKiPT2_llS2_IjLj3EEmmmmmmmmm,comdat
	.globl	_ZL10k_get_rowsILi32ELi2EXadL_ZL15dequantize_q4_0PKvliR15HIP_vector_typeIfLj2EEEE14__hip_bfloat16EvS1_PKiPT2_llS2_IjLj3EEmmmmmmmmm ; -- Begin function _ZL10k_get_rowsILi32ELi2EXadL_ZL15dequantize_q4_0PKvliR15HIP_vector_typeIfLj2EEEE14__hip_bfloat16EvS1_PKiPT2_llS2_IjLj3EEmmmmmmmmm
	.p2align	8
	.type	_ZL10k_get_rowsILi32ELi2EXadL_ZL15dequantize_q4_0PKvliR15HIP_vector_typeIfLj2EEEE14__hip_bfloat16EvS1_PKiPT2_llS2_IjLj3EEmmmmmmmmm,@function
_ZL10k_get_rowsILi32ELi2EXadL_ZL15dequantize_q4_0PKvliR15HIP_vector_typeIfLj2EEEE14__hip_bfloat16EvS1_PKiPT2_llS2_IjLj3EEmmmmmmmmm: ; @_ZL10k_get_rowsILi32ELi2EXadL_ZL15dequantize_q4_0PKvliR15HIP_vector_typeIfLj2EEEE14__hip_bfloat16EvS1_PKiPT2_llS2_IjLj3EEmmmmmmmmm
; %bb.0:
	s_load_dwordx4 s[24:27], s[0:1], 0x18
	s_load_dwordx2 s[6:7], s[0:1], 0x2c
	s_mov_b32 s5, 0
	v_mov_b64_e32 v[2:3], s[4:5]
	s_waitcnt lgkmcnt(0)
	s_mul_i32 s8, s27, s7
	s_mul_hi_u32 s9, s26, s7
	s_add_i32 s39, s9, s8
	s_mul_i32 s38, s26, s7
	v_cmp_le_i64_e32 vcc, s[38:39], v[2:3]
	s_cbranch_vccnz .LBB35_6
; %bb.1:
	s_load_dwordx4 s[28:31], s[0:1], 0x0
	s_load_dwordx2 s[40:41], s[0:1], 0x10
	s_load_dwordx2 s[26:27], s[0:1], 0x78
	;; [unrolled: 1-line block ×3, first 2 shown]
	s_load_dword s33, s[0:1], 0x28
	s_load_dwordx16 s[8:23], s[0:1], 0x38
	s_add_u32 s36, s0, 0x80
	s_addc_u32 s37, s1, 0
	s_waitcnt lgkmcnt(0)
	s_and_b32 s35, s35, 0xffff
	s_mul_i32 s3, s3, s35
	v_add_lshl_u32 v0, s3, v0, 1
	s_ashr_i32 s3, s2, 31
	s_mul_hi_u32 s42, s20, s2
	s_mul_i32 s43, s20, s3
	s_add_i32 s42, s42, s43
	s_mul_i32 s21, s21, s2
	s_add_i32 s21, s42, s21
	s_mul_i32 s20, s20, s2
	s_lshl_b64 s[20:21], s[20:21], 2
	s_add_u32 s42, s30, s20
	s_mul_hi_u32 s20, s8, s2
	s_mul_i32 s3, s8, s3
	s_addc_u32 s43, s31, s21
	s_add_i32 s3, s20, s3
	s_mul_i32 s9, s9, s2
	s_add_i32 s3, s3, s9
	s_mul_i32 s2, s8, s2
	s_lshl_b64 s[2:3], s[2:3], 1
	v_mov_b32_e32 v1, 0
	s_add_u32 s44, s40, s2
	v_mov_b64_e32 v[2:3], v[0:1]
	v_cmp_gt_i64_e64 s[0:1], s[24:25], v[0:1]
	s_addc_u32 s45, s41, s3
	v_lshlrev_b64 v[4:5], 27, v[0:1]
	s_movk_i32 s46, 0xffe0
	v_mov_b64_e32 v[6:7], s[38:39]
	s_mov_b64 s[2:3], s[4:5]
	s_branch .LBB35_3
.LBB35_2:                               ;   in Loop: Header=BB35_3 Depth=1
	s_or_b64 exec, exec, s[8:9]
	s_add_u32 s2, s2, s34
	s_addc_u32 s3, s3, 0
	v_cmp_ge_i64_e32 vcc, s[2:3], v[6:7]
	s_cbranch_vccnz .LBB35_6
.LBB35_3:                               ; =>This Loop Header: Depth=1
                                        ;     Child Loop BB35_5 Depth 2
	s_and_saveexec_b64 s[8:9], s[0:1]
	s_cbranch_execz .LBB35_2
; %bb.4:                                ;   in Loop: Header=BB35_3 Depth=1
	s_mul_hi_u32 s4, s2, s33
	s_add_i32 s4, s4, s2
	s_lshr_b32 s4, s4, s6
	s_mul_i32 s20, s4, s7
	s_sub_i32 s38, s2, s20
	s_ashr_i32 s39, s4, 31
	s_mul_i32 s20, s22, s39
	s_mul_hi_u32 s21, s22, s4
	s_ashr_i32 s40, s38, 31
	s_add_i32 s20, s21, s20
	s_mul_i32 s21, s23, s4
	s_mul_i32 s30, s26, s40
	s_mul_hi_u32 s31, s26, s38
	s_add_i32 s21, s20, s21
	s_mul_i32 s20, s22, s4
	s_add_i32 s30, s31, s30
	s_mul_i32 s31, s27, s38
	s_add_i32 s31, s30, s31
	s_lshl_b64 s[20:21], s[20:21], 2
	s_mul_i32 s30, s26, s38
	s_add_u32 s41, s42, s20
	s_addc_u32 s47, s43, s21
	s_lshl_b64 s[20:21], s[30:31], 2
	s_add_u32 s20, s41, s20
	s_addc_u32 s21, s47, s21
	s_load_dword s30, s[20:21], 0x0
	s_mul_i32 s20, s10, s39
	s_mul_hi_u32 s21, s10, s4
	s_add_i32 s20, s21, s20
	s_mul_i32 s21, s11, s4
	s_add_i32 s21, s20, s21
	s_mul_i32 s20, s10, s4
	s_waitcnt lgkmcnt(0)
	s_ashr_i32 s31, s30, 31
	s_lshl_b64 s[20:21], s[20:21], 1
	s_add_u32 s41, s44, s20
	s_addc_u32 s47, s45, s21
	s_mul_i32 s20, s12, s40
	s_mul_hi_u32 s21, s12, s38
	s_add_i32 s20, s21, s20
	s_mul_i32 s21, s13, s38
	s_add_i32 s21, s20, s21
	s_mul_i32 s20, s12, s38
	s_lshl_b64 s[20:21], s[20:21], 1
	s_add_u32 s20, s41, s20
	s_mul_i32 s31, s14, s31
	s_mul_hi_u32 s41, s14, s30
	s_addc_u32 s21, s47, s21
	s_add_i32 s31, s41, s31
	s_mul_i32 s41, s15, s30
	s_add_i32 s31, s31, s41
	s_mul_i32 s30, s14, s30
	s_add_u32 s30, s28, s30
	s_mul_i32 s39, s16, s39
	s_mul_hi_u32 s41, s16, s4
	s_addc_u32 s31, s29, s31
	s_add_i32 s39, s41, s39
	s_mul_i32 s41, s17, s4
	s_add_i32 s39, s39, s41
	s_mul_i32 s4, s16, s4
	s_add_u32 s4, s30, s4
	s_mul_i32 s30, s18, s40
	s_load_dword s40, s[36:37], 0x4
	s_addc_u32 s31, s31, s39
	s_mul_hi_u32 s39, s18, s38
	s_add_i32 s30, s39, s30
	s_mul_i32 s39, s19, s38
	s_add_i32 s39, s30, s39
	s_mul_i32 s30, s18, s38
	s_add_u32 s30, s4, s30
	s_waitcnt lgkmcnt(0)
	s_mul_i32 s4, s40, s35
	s_addc_u32 s31, s31, s39
	s_lshl_b64 s[38:39], s[4:5], 27
	s_mov_b64 s[40:41], 0
	v_mov_b64_e32 v[8:9], v[4:5]
	v_mov_b64_e32 v[10:11], v[2:3]
.LBB35_5:                               ;   Parent Loop BB35_3 Depth=1
                                        ; =>  This Inner Loop Header: Depth=2
	v_bfe_u32 v0, v10, 1, 4
	v_mad_i64_i32 v[12:13], s[48:49], v9, 18, s[30:31]
	v_lshl_add_u64 v[14:15], v[12:13], 0, v[0:1]
	global_load_ushort v16, v[12:13], off
	global_load_ubyte v17, v[14:15], off offset:2
	v_and_or_b32 v12, v10, s46, v0
	v_lshl_add_u64 v[10:11], v[10:11], 0, s[4:5]
	v_ashrrev_i32_e32 v13, 31, v12
	v_cmp_le_i64_e32 vcc, s[24:25], v[10:11]
	v_lshl_add_u64 v[8:9], v[8:9], 0, s[38:39]
	v_lshl_add_u64 v[12:13], v[12:13], 1, s[20:21]
	s_or_b64 s[40:41], vcc, s[40:41]
	s_waitcnt vmcnt(1)
	v_cvt_f32_f16_e32 v0, v16
	s_waitcnt vmcnt(0)
	v_and_b32_e32 v14, 15, v17
	v_lshrrev_b32_e32 v15, 4, v17
	v_add_u32_e32 v14, -8, v14
	v_add_u32_e32 v15, -8, v15
	v_cvt_f32_i32_e32 v14, v14
	v_cvt_f32_i32_e32 v15, v15
	v_mul_f32_e32 v14, v0, v14
	v_mul_f32_e32 v0, v0, v15
	v_cvt_pk_bf16_f32 v14, v14, s0
	v_cvt_pk_bf16_f32 v0, v0, s0
	global_store_short v[12:13], v14, off
	global_store_short v[12:13], v0, off offset:32
	s_andn2_b64 exec, exec, s[40:41]
	s_cbranch_execnz .LBB35_5
	s_branch .LBB35_2
.LBB35_6:
	s_endpgm
	.section	.rodata,"a",@progbits
	.p2align	6, 0x0
	.amdhsa_kernel _ZL10k_get_rowsILi32ELi2EXadL_ZL15dequantize_q4_0PKvliR15HIP_vector_typeIfLj2EEEE14__hip_bfloat16EvS1_PKiPT2_llS2_IjLj3EEmmmmmmmmm
		.amdhsa_group_segment_fixed_size 0
		.amdhsa_private_segment_fixed_size 0
		.amdhsa_kernarg_size 384
		.amdhsa_user_sgpr_count 2
		.amdhsa_user_sgpr_dispatch_ptr 0
		.amdhsa_user_sgpr_queue_ptr 0
		.amdhsa_user_sgpr_kernarg_segment_ptr 1
		.amdhsa_user_sgpr_dispatch_id 0
		.amdhsa_user_sgpr_kernarg_preload_length 0
		.amdhsa_user_sgpr_kernarg_preload_offset 0
		.amdhsa_user_sgpr_private_segment_size 0
		.amdhsa_uses_dynamic_stack 0
		.amdhsa_enable_private_segment 0
		.amdhsa_system_sgpr_workgroup_id_x 1
		.amdhsa_system_sgpr_workgroup_id_y 1
		.amdhsa_system_sgpr_workgroup_id_z 1
		.amdhsa_system_sgpr_workgroup_info 0
		.amdhsa_system_vgpr_workitem_id 0
		.amdhsa_next_free_vgpr 18
		.amdhsa_next_free_sgpr 50
		.amdhsa_accum_offset 20
		.amdhsa_reserve_vcc 1
		.amdhsa_float_round_mode_32 0
		.amdhsa_float_round_mode_16_64 0
		.amdhsa_float_denorm_mode_32 3
		.amdhsa_float_denorm_mode_16_64 3
		.amdhsa_dx10_clamp 1
		.amdhsa_ieee_mode 1
		.amdhsa_fp16_overflow 0
		.amdhsa_tg_split 0
		.amdhsa_exception_fp_ieee_invalid_op 0
		.amdhsa_exception_fp_denorm_src 0
		.amdhsa_exception_fp_ieee_div_zero 0
		.amdhsa_exception_fp_ieee_overflow 0
		.amdhsa_exception_fp_ieee_underflow 0
		.amdhsa_exception_fp_ieee_inexact 0
		.amdhsa_exception_int_div_zero 0
	.end_amdhsa_kernel
	.section	.text._ZL10k_get_rowsILi32ELi2EXadL_ZL15dequantize_q4_0PKvliR15HIP_vector_typeIfLj2EEEE14__hip_bfloat16EvS1_PKiPT2_llS2_IjLj3EEmmmmmmmmm,"axG",@progbits,_ZL10k_get_rowsILi32ELi2EXadL_ZL15dequantize_q4_0PKvliR15HIP_vector_typeIfLj2EEEE14__hip_bfloat16EvS1_PKiPT2_llS2_IjLj3EEmmmmmmmmm,comdat
.Lfunc_end35:
	.size	_ZL10k_get_rowsILi32ELi2EXadL_ZL15dequantize_q4_0PKvliR15HIP_vector_typeIfLj2EEEE14__hip_bfloat16EvS1_PKiPT2_llS2_IjLj3EEmmmmmmmmm, .Lfunc_end35-_ZL10k_get_rowsILi32ELi2EXadL_ZL15dequantize_q4_0PKvliR15HIP_vector_typeIfLj2EEEE14__hip_bfloat16EvS1_PKiPT2_llS2_IjLj3EEmmmmmmmmm
                                        ; -- End function
	.set _ZL10k_get_rowsILi32ELi2EXadL_ZL15dequantize_q4_0PKvliR15HIP_vector_typeIfLj2EEEE14__hip_bfloat16EvS1_PKiPT2_llS2_IjLj3EEmmmmmmmmm.num_vgpr, 18
	.set _ZL10k_get_rowsILi32ELi2EXadL_ZL15dequantize_q4_0PKvliR15HIP_vector_typeIfLj2EEEE14__hip_bfloat16EvS1_PKiPT2_llS2_IjLj3EEmmmmmmmmm.num_agpr, 0
	.set _ZL10k_get_rowsILi32ELi2EXadL_ZL15dequantize_q4_0PKvliR15HIP_vector_typeIfLj2EEEE14__hip_bfloat16EvS1_PKiPT2_llS2_IjLj3EEmmmmmmmmm.numbered_sgpr, 50
	.set _ZL10k_get_rowsILi32ELi2EXadL_ZL15dequantize_q4_0PKvliR15HIP_vector_typeIfLj2EEEE14__hip_bfloat16EvS1_PKiPT2_llS2_IjLj3EEmmmmmmmmm.num_named_barrier, 0
	.set _ZL10k_get_rowsILi32ELi2EXadL_ZL15dequantize_q4_0PKvliR15HIP_vector_typeIfLj2EEEE14__hip_bfloat16EvS1_PKiPT2_llS2_IjLj3EEmmmmmmmmm.private_seg_size, 0
	.set _ZL10k_get_rowsILi32ELi2EXadL_ZL15dequantize_q4_0PKvliR15HIP_vector_typeIfLj2EEEE14__hip_bfloat16EvS1_PKiPT2_llS2_IjLj3EEmmmmmmmmm.uses_vcc, 1
	.set _ZL10k_get_rowsILi32ELi2EXadL_ZL15dequantize_q4_0PKvliR15HIP_vector_typeIfLj2EEEE14__hip_bfloat16EvS1_PKiPT2_llS2_IjLj3EEmmmmmmmmm.uses_flat_scratch, 0
	.set _ZL10k_get_rowsILi32ELi2EXadL_ZL15dequantize_q4_0PKvliR15HIP_vector_typeIfLj2EEEE14__hip_bfloat16EvS1_PKiPT2_llS2_IjLj3EEmmmmmmmmm.has_dyn_sized_stack, 0
	.set _ZL10k_get_rowsILi32ELi2EXadL_ZL15dequantize_q4_0PKvliR15HIP_vector_typeIfLj2EEEE14__hip_bfloat16EvS1_PKiPT2_llS2_IjLj3EEmmmmmmmmm.has_recursion, 0
	.set _ZL10k_get_rowsILi32ELi2EXadL_ZL15dequantize_q4_0PKvliR15HIP_vector_typeIfLj2EEEE14__hip_bfloat16EvS1_PKiPT2_llS2_IjLj3EEmmmmmmmmm.has_indirect_call, 0
	.section	.AMDGPU.csdata,"",@progbits
; Kernel info:
; codeLenInByte = 772
; TotalNumSgprs: 56
; NumVgprs: 18
; NumAgprs: 0
; TotalNumVgprs: 18
; ScratchSize: 0
; MemoryBound: 0
; FloatMode: 240
; IeeeMode: 1
; LDSByteSize: 0 bytes/workgroup (compile time only)
; SGPRBlocks: 6
; VGPRBlocks: 2
; NumSGPRsForWavesPerEU: 56
; NumVGPRsForWavesPerEU: 18
; AccumOffset: 20
; Occupancy: 8
; WaveLimiterHint : 1
; COMPUTE_PGM_RSRC2:SCRATCH_EN: 0
; COMPUTE_PGM_RSRC2:USER_SGPR: 2
; COMPUTE_PGM_RSRC2:TRAP_HANDLER: 0
; COMPUTE_PGM_RSRC2:TGID_X_EN: 1
; COMPUTE_PGM_RSRC2:TGID_Y_EN: 1
; COMPUTE_PGM_RSRC2:TGID_Z_EN: 1
; COMPUTE_PGM_RSRC2:TIDIG_COMP_CNT: 0
; COMPUTE_PGM_RSRC3_GFX90A:ACCUM_OFFSET: 4
; COMPUTE_PGM_RSRC3_GFX90A:TG_SPLIT: 0
	.section	.text._ZL10k_get_rowsILi32ELi2EXadL_ZL15dequantize_q4_1PKvliR15HIP_vector_typeIfLj2EEEE14__hip_bfloat16EvS1_PKiPT2_llS2_IjLj3EEmmmmmmmmm,"axG",@progbits,_ZL10k_get_rowsILi32ELi2EXadL_ZL15dequantize_q4_1PKvliR15HIP_vector_typeIfLj2EEEE14__hip_bfloat16EvS1_PKiPT2_llS2_IjLj3EEmmmmmmmmm,comdat
	.globl	_ZL10k_get_rowsILi32ELi2EXadL_ZL15dequantize_q4_1PKvliR15HIP_vector_typeIfLj2EEEE14__hip_bfloat16EvS1_PKiPT2_llS2_IjLj3EEmmmmmmmmm ; -- Begin function _ZL10k_get_rowsILi32ELi2EXadL_ZL15dequantize_q4_1PKvliR15HIP_vector_typeIfLj2EEEE14__hip_bfloat16EvS1_PKiPT2_llS2_IjLj3EEmmmmmmmmm
	.p2align	8
	.type	_ZL10k_get_rowsILi32ELi2EXadL_ZL15dequantize_q4_1PKvliR15HIP_vector_typeIfLj2EEEE14__hip_bfloat16EvS1_PKiPT2_llS2_IjLj3EEmmmmmmmmm,@function
_ZL10k_get_rowsILi32ELi2EXadL_ZL15dequantize_q4_1PKvliR15HIP_vector_typeIfLj2EEEE14__hip_bfloat16EvS1_PKiPT2_llS2_IjLj3EEmmmmmmmmm: ; @_ZL10k_get_rowsILi32ELi2EXadL_ZL15dequantize_q4_1PKvliR15HIP_vector_typeIfLj2EEEE14__hip_bfloat16EvS1_PKiPT2_llS2_IjLj3EEmmmmmmmmm
; %bb.0:
	s_load_dwordx4 s[24:27], s[0:1], 0x18
	s_load_dwordx2 s[6:7], s[0:1], 0x2c
	s_mov_b32 s5, 0
	v_mov_b64_e32 v[2:3], s[4:5]
	s_waitcnt lgkmcnt(0)
	s_mul_i32 s8, s27, s7
	s_mul_hi_u32 s9, s26, s7
	s_add_i32 s39, s9, s8
	s_mul_i32 s38, s26, s7
	v_cmp_le_i64_e32 vcc, s[38:39], v[2:3]
	s_cbranch_vccnz .LBB36_6
; %bb.1:
	s_load_dwordx4 s[28:31], s[0:1], 0x0
	s_load_dwordx2 s[40:41], s[0:1], 0x10
	s_load_dwordx2 s[26:27], s[0:1], 0x78
	;; [unrolled: 1-line block ×3, first 2 shown]
	s_load_dword s33, s[0:1], 0x28
	s_load_dwordx16 s[8:23], s[0:1], 0x38
	s_add_u32 s36, s0, 0x80
	s_addc_u32 s37, s1, 0
	s_waitcnt lgkmcnt(0)
	s_and_b32 s35, s35, 0xffff
	s_mul_i32 s3, s3, s35
	v_add_lshl_u32 v0, s3, v0, 1
	s_ashr_i32 s3, s2, 31
	s_mul_hi_u32 s42, s20, s2
	s_mul_i32 s43, s20, s3
	s_add_i32 s42, s42, s43
	s_mul_i32 s21, s21, s2
	s_add_i32 s21, s42, s21
	s_mul_i32 s20, s20, s2
	s_lshl_b64 s[20:21], s[20:21], 2
	s_add_u32 s42, s30, s20
	s_mul_hi_u32 s20, s8, s2
	s_mul_i32 s3, s8, s3
	s_addc_u32 s43, s31, s21
	s_add_i32 s3, s20, s3
	s_mul_i32 s9, s9, s2
	s_add_i32 s3, s3, s9
	s_mul_i32 s2, s8, s2
	s_lshl_b64 s[2:3], s[2:3], 1
	v_mov_b32_e32 v1, 0
	s_add_u32 s44, s40, s2
	v_mov_b64_e32 v[2:3], v[0:1]
	v_cmp_gt_i64_e64 s[0:1], s[24:25], v[0:1]
	s_addc_u32 s45, s41, s3
	v_lshlrev_b64 v[4:5], 27, v[0:1]
	s_movk_i32 s46, 0xffe0
	v_mov_b64_e32 v[6:7], s[38:39]
	s_mov_b64 s[2:3], s[4:5]
	s_branch .LBB36_3
.LBB36_2:                               ;   in Loop: Header=BB36_3 Depth=1
	s_or_b64 exec, exec, s[8:9]
	s_add_u32 s2, s2, s34
	s_addc_u32 s3, s3, 0
	v_cmp_ge_i64_e32 vcc, s[2:3], v[6:7]
	s_cbranch_vccnz .LBB36_6
.LBB36_3:                               ; =>This Loop Header: Depth=1
                                        ;     Child Loop BB36_5 Depth 2
	s_and_saveexec_b64 s[8:9], s[0:1]
	s_cbranch_execz .LBB36_2
; %bb.4:                                ;   in Loop: Header=BB36_3 Depth=1
	s_mul_hi_u32 s4, s2, s33
	s_add_i32 s4, s4, s2
	s_lshr_b32 s4, s4, s6
	s_mul_i32 s20, s4, s7
	s_sub_i32 s38, s2, s20
	s_ashr_i32 s39, s4, 31
	s_mul_i32 s20, s22, s39
	s_mul_hi_u32 s21, s22, s4
	s_ashr_i32 s40, s38, 31
	s_add_i32 s20, s21, s20
	s_mul_i32 s21, s23, s4
	s_mul_i32 s30, s26, s40
	s_mul_hi_u32 s31, s26, s38
	s_add_i32 s21, s20, s21
	s_mul_i32 s20, s22, s4
	s_add_i32 s30, s31, s30
	s_mul_i32 s31, s27, s38
	s_add_i32 s31, s30, s31
	s_lshl_b64 s[20:21], s[20:21], 2
	s_mul_i32 s30, s26, s38
	s_add_u32 s41, s42, s20
	s_addc_u32 s47, s43, s21
	s_lshl_b64 s[20:21], s[30:31], 2
	s_add_u32 s20, s41, s20
	s_addc_u32 s21, s47, s21
	s_load_dword s30, s[20:21], 0x0
	s_mul_i32 s20, s10, s39
	s_mul_hi_u32 s21, s10, s4
	s_add_i32 s20, s21, s20
	s_mul_i32 s21, s11, s4
	s_add_i32 s21, s20, s21
	s_mul_i32 s20, s10, s4
	s_waitcnt lgkmcnt(0)
	s_ashr_i32 s31, s30, 31
	s_lshl_b64 s[20:21], s[20:21], 1
	s_add_u32 s41, s44, s20
	s_addc_u32 s47, s45, s21
	s_mul_i32 s20, s12, s40
	s_mul_hi_u32 s21, s12, s38
	s_add_i32 s20, s21, s20
	s_mul_i32 s21, s13, s38
	s_add_i32 s21, s20, s21
	s_mul_i32 s20, s12, s38
	s_lshl_b64 s[20:21], s[20:21], 1
	s_add_u32 s20, s41, s20
	s_mul_i32 s31, s14, s31
	s_mul_hi_u32 s41, s14, s30
	s_addc_u32 s21, s47, s21
	s_add_i32 s31, s41, s31
	s_mul_i32 s41, s15, s30
	s_add_i32 s31, s31, s41
	s_mul_i32 s30, s14, s30
	s_add_u32 s30, s28, s30
	s_mul_i32 s39, s16, s39
	s_mul_hi_u32 s41, s16, s4
	s_addc_u32 s31, s29, s31
	s_add_i32 s39, s41, s39
	s_mul_i32 s41, s17, s4
	s_add_i32 s39, s39, s41
	s_mul_i32 s4, s16, s4
	s_add_u32 s4, s30, s4
	s_mul_i32 s30, s18, s40
	s_load_dword s40, s[36:37], 0x4
	s_addc_u32 s31, s31, s39
	s_mul_hi_u32 s39, s18, s38
	s_add_i32 s30, s39, s30
	s_mul_i32 s39, s19, s38
	s_add_i32 s39, s30, s39
	s_mul_i32 s30, s18, s38
	s_add_u32 s30, s4, s30
	s_waitcnt lgkmcnt(0)
	s_mul_i32 s4, s40, s35
	s_addc_u32 s31, s31, s39
	s_lshl_b64 s[38:39], s[4:5], 27
	s_mov_b64 s[40:41], 0
	v_mov_b64_e32 v[8:9], v[4:5]
	v_mov_b64_e32 v[10:11], v[2:3]
.LBB36_5:                               ;   Parent Loop BB36_3 Depth=1
                                        ; =>  This Inner Loop Header: Depth=2
	v_bfe_u32 v0, v10, 1, 4
	v_mad_i64_i32 v[12:13], s[48:49], v9, 20, s[30:31]
	v_lshl_add_u64 v[14:15], v[12:13], 0, v[0:1]
	global_load_dword v16, v[12:13], off
	global_load_ubyte v17, v[14:15], off offset:4
	v_and_or_b32 v12, v10, s46, v0
	v_lshl_add_u64 v[10:11], v[10:11], 0, s[4:5]
	v_ashrrev_i32_e32 v13, 31, v12
	v_cmp_le_i64_e32 vcc, s[24:25], v[10:11]
	v_lshl_add_u64 v[8:9], v[8:9], 0, s[38:39]
	v_lshl_add_u64 v[12:13], v[12:13], 1, s[20:21]
	s_or_b64 s[40:41], vcc, s[40:41]
	s_waitcnt vmcnt(0)
	v_and_b32_e32 v0, 15, v17
	v_lshrrev_b32_e32 v14, 4, v17
	v_cvt_f32_ubyte0_e32 v0, v0
	v_cvt_f32_ubyte0_e32 v14, v14
	v_fma_mix_f32 v0, v16, v0, v16 op_sel:[0,0,1] op_sel_hi:[1,0,1]
	v_fma_mix_f32 v14, v16, v14, v16 op_sel:[0,0,1] op_sel_hi:[1,0,1]
	v_cvt_pk_bf16_f32 v0, v0, s0
	v_cvt_pk_bf16_f32 v14, v14, s0
	global_store_short v[12:13], v0, off
	global_store_short v[12:13], v14, off offset:32
	s_andn2_b64 exec, exec, s[40:41]
	s_cbranch_execnz .LBB36_5
	s_branch .LBB36_2
.LBB36_6:
	s_endpgm
	.section	.rodata,"a",@progbits
	.p2align	6, 0x0
	.amdhsa_kernel _ZL10k_get_rowsILi32ELi2EXadL_ZL15dequantize_q4_1PKvliR15HIP_vector_typeIfLj2EEEE14__hip_bfloat16EvS1_PKiPT2_llS2_IjLj3EEmmmmmmmmm
		.amdhsa_group_segment_fixed_size 0
		.amdhsa_private_segment_fixed_size 0
		.amdhsa_kernarg_size 384
		.amdhsa_user_sgpr_count 2
		.amdhsa_user_sgpr_dispatch_ptr 0
		.amdhsa_user_sgpr_queue_ptr 0
		.amdhsa_user_sgpr_kernarg_segment_ptr 1
		.amdhsa_user_sgpr_dispatch_id 0
		.amdhsa_user_sgpr_kernarg_preload_length 0
		.amdhsa_user_sgpr_kernarg_preload_offset 0
		.amdhsa_user_sgpr_private_segment_size 0
		.amdhsa_uses_dynamic_stack 0
		.amdhsa_enable_private_segment 0
		.amdhsa_system_sgpr_workgroup_id_x 1
		.amdhsa_system_sgpr_workgroup_id_y 1
		.amdhsa_system_sgpr_workgroup_id_z 1
		.amdhsa_system_sgpr_workgroup_info 0
		.amdhsa_system_vgpr_workitem_id 0
		.amdhsa_next_free_vgpr 18
		.amdhsa_next_free_sgpr 50
		.amdhsa_accum_offset 20
		.amdhsa_reserve_vcc 1
		.amdhsa_float_round_mode_32 0
		.amdhsa_float_round_mode_16_64 0
		.amdhsa_float_denorm_mode_32 3
		.amdhsa_float_denorm_mode_16_64 3
		.amdhsa_dx10_clamp 1
		.amdhsa_ieee_mode 1
		.amdhsa_fp16_overflow 0
		.amdhsa_tg_split 0
		.amdhsa_exception_fp_ieee_invalid_op 0
		.amdhsa_exception_fp_denorm_src 0
		.amdhsa_exception_fp_ieee_div_zero 0
		.amdhsa_exception_fp_ieee_overflow 0
		.amdhsa_exception_fp_ieee_underflow 0
		.amdhsa_exception_fp_ieee_inexact 0
		.amdhsa_exception_int_div_zero 0
	.end_amdhsa_kernel
	.section	.text._ZL10k_get_rowsILi32ELi2EXadL_ZL15dequantize_q4_1PKvliR15HIP_vector_typeIfLj2EEEE14__hip_bfloat16EvS1_PKiPT2_llS2_IjLj3EEmmmmmmmmm,"axG",@progbits,_ZL10k_get_rowsILi32ELi2EXadL_ZL15dequantize_q4_1PKvliR15HIP_vector_typeIfLj2EEEE14__hip_bfloat16EvS1_PKiPT2_llS2_IjLj3EEmmmmmmmmm,comdat
.Lfunc_end36:
	.size	_ZL10k_get_rowsILi32ELi2EXadL_ZL15dequantize_q4_1PKvliR15HIP_vector_typeIfLj2EEEE14__hip_bfloat16EvS1_PKiPT2_llS2_IjLj3EEmmmmmmmmm, .Lfunc_end36-_ZL10k_get_rowsILi32ELi2EXadL_ZL15dequantize_q4_1PKvliR15HIP_vector_typeIfLj2EEEE14__hip_bfloat16EvS1_PKiPT2_llS2_IjLj3EEmmmmmmmmm
                                        ; -- End function
	.set _ZL10k_get_rowsILi32ELi2EXadL_ZL15dequantize_q4_1PKvliR15HIP_vector_typeIfLj2EEEE14__hip_bfloat16EvS1_PKiPT2_llS2_IjLj3EEmmmmmmmmm.num_vgpr, 18
	.set _ZL10k_get_rowsILi32ELi2EXadL_ZL15dequantize_q4_1PKvliR15HIP_vector_typeIfLj2EEEE14__hip_bfloat16EvS1_PKiPT2_llS2_IjLj3EEmmmmmmmmm.num_agpr, 0
	.set _ZL10k_get_rowsILi32ELi2EXadL_ZL15dequantize_q4_1PKvliR15HIP_vector_typeIfLj2EEEE14__hip_bfloat16EvS1_PKiPT2_llS2_IjLj3EEmmmmmmmmm.numbered_sgpr, 50
	.set _ZL10k_get_rowsILi32ELi2EXadL_ZL15dequantize_q4_1PKvliR15HIP_vector_typeIfLj2EEEE14__hip_bfloat16EvS1_PKiPT2_llS2_IjLj3EEmmmmmmmmm.num_named_barrier, 0
	.set _ZL10k_get_rowsILi32ELi2EXadL_ZL15dequantize_q4_1PKvliR15HIP_vector_typeIfLj2EEEE14__hip_bfloat16EvS1_PKiPT2_llS2_IjLj3EEmmmmmmmmm.private_seg_size, 0
	.set _ZL10k_get_rowsILi32ELi2EXadL_ZL15dequantize_q4_1PKvliR15HIP_vector_typeIfLj2EEEE14__hip_bfloat16EvS1_PKiPT2_llS2_IjLj3EEmmmmmmmmm.uses_vcc, 1
	.set _ZL10k_get_rowsILi32ELi2EXadL_ZL15dequantize_q4_1PKvliR15HIP_vector_typeIfLj2EEEE14__hip_bfloat16EvS1_PKiPT2_llS2_IjLj3EEmmmmmmmmm.uses_flat_scratch, 0
	.set _ZL10k_get_rowsILi32ELi2EXadL_ZL15dequantize_q4_1PKvliR15HIP_vector_typeIfLj2EEEE14__hip_bfloat16EvS1_PKiPT2_llS2_IjLj3EEmmmmmmmmm.has_dyn_sized_stack, 0
	.set _ZL10k_get_rowsILi32ELi2EXadL_ZL15dequantize_q4_1PKvliR15HIP_vector_typeIfLj2EEEE14__hip_bfloat16EvS1_PKiPT2_llS2_IjLj3EEmmmmmmmmm.has_recursion, 0
	.set _ZL10k_get_rowsILi32ELi2EXadL_ZL15dequantize_q4_1PKvliR15HIP_vector_typeIfLj2EEEE14__hip_bfloat16EvS1_PKiPT2_llS2_IjLj3EEmmmmmmmmm.has_indirect_call, 0
	.section	.AMDGPU.csdata,"",@progbits
; Kernel info:
; codeLenInByte = 764
; TotalNumSgprs: 56
; NumVgprs: 18
; NumAgprs: 0
; TotalNumVgprs: 18
; ScratchSize: 0
; MemoryBound: 0
; FloatMode: 240
; IeeeMode: 1
; LDSByteSize: 0 bytes/workgroup (compile time only)
; SGPRBlocks: 6
; VGPRBlocks: 2
; NumSGPRsForWavesPerEU: 56
; NumVGPRsForWavesPerEU: 18
; AccumOffset: 20
; Occupancy: 8
; WaveLimiterHint : 1
; COMPUTE_PGM_RSRC2:SCRATCH_EN: 0
; COMPUTE_PGM_RSRC2:USER_SGPR: 2
; COMPUTE_PGM_RSRC2:TRAP_HANDLER: 0
; COMPUTE_PGM_RSRC2:TGID_X_EN: 1
; COMPUTE_PGM_RSRC2:TGID_Y_EN: 1
; COMPUTE_PGM_RSRC2:TGID_Z_EN: 1
; COMPUTE_PGM_RSRC2:TIDIG_COMP_CNT: 0
; COMPUTE_PGM_RSRC3_GFX90A:ACCUM_OFFSET: 4
; COMPUTE_PGM_RSRC3_GFX90A:TG_SPLIT: 0
	.section	.text._ZL10k_get_rowsILi32ELi2EXadL_ZL15dequantize_q5_0PKvliR15HIP_vector_typeIfLj2EEEE14__hip_bfloat16EvS1_PKiPT2_llS2_IjLj3EEmmmmmmmmm,"axG",@progbits,_ZL10k_get_rowsILi32ELi2EXadL_ZL15dequantize_q5_0PKvliR15HIP_vector_typeIfLj2EEEE14__hip_bfloat16EvS1_PKiPT2_llS2_IjLj3EEmmmmmmmmm,comdat
	.globl	_ZL10k_get_rowsILi32ELi2EXadL_ZL15dequantize_q5_0PKvliR15HIP_vector_typeIfLj2EEEE14__hip_bfloat16EvS1_PKiPT2_llS2_IjLj3EEmmmmmmmmm ; -- Begin function _ZL10k_get_rowsILi32ELi2EXadL_ZL15dequantize_q5_0PKvliR15HIP_vector_typeIfLj2EEEE14__hip_bfloat16EvS1_PKiPT2_llS2_IjLj3EEmmmmmmmmm
	.p2align	8
	.type	_ZL10k_get_rowsILi32ELi2EXadL_ZL15dequantize_q5_0PKvliR15HIP_vector_typeIfLj2EEEE14__hip_bfloat16EvS1_PKiPT2_llS2_IjLj3EEmmmmmmmmm,@function
_ZL10k_get_rowsILi32ELi2EXadL_ZL15dequantize_q5_0PKvliR15HIP_vector_typeIfLj2EEEE14__hip_bfloat16EvS1_PKiPT2_llS2_IjLj3EEmmmmmmmmm: ; @_ZL10k_get_rowsILi32ELi2EXadL_ZL15dequantize_q5_0PKvliR15HIP_vector_typeIfLj2EEEE14__hip_bfloat16EvS1_PKiPT2_llS2_IjLj3EEmmmmmmmmm
; %bb.0:
	s_load_dwordx4 s[24:27], s[0:1], 0x18
	s_load_dwordx2 s[6:7], s[0:1], 0x2c
	s_mov_b32 s5, 0
	v_mov_b64_e32 v[2:3], s[4:5]
	s_waitcnt lgkmcnt(0)
	s_mul_i32 s8, s27, s7
	s_mul_hi_u32 s9, s26, s7
	s_add_i32 s39, s9, s8
	s_mul_i32 s38, s26, s7
	v_cmp_le_i64_e32 vcc, s[38:39], v[2:3]
	s_cbranch_vccnz .LBB37_6
; %bb.1:
	s_load_dwordx4 s[28:31], s[0:1], 0x0
	s_load_dwordx2 s[40:41], s[0:1], 0x10
	s_load_dwordx2 s[26:27], s[0:1], 0x78
	;; [unrolled: 1-line block ×3, first 2 shown]
	s_load_dword s33, s[0:1], 0x28
	s_load_dwordx16 s[8:23], s[0:1], 0x38
	s_add_u32 s36, s0, 0x80
	s_addc_u32 s37, s1, 0
	s_waitcnt lgkmcnt(0)
	s_and_b32 s35, s35, 0xffff
	s_mul_i32 s3, s3, s35
	v_add_lshl_u32 v0, s3, v0, 1
	s_ashr_i32 s3, s2, 31
	s_mul_hi_u32 s42, s20, s2
	s_mul_i32 s43, s20, s3
	s_add_i32 s42, s42, s43
	s_mul_i32 s21, s21, s2
	s_add_i32 s21, s42, s21
	s_mul_i32 s20, s20, s2
	s_lshl_b64 s[20:21], s[20:21], 2
	s_add_u32 s42, s30, s20
	s_mul_hi_u32 s20, s8, s2
	s_mul_i32 s3, s8, s3
	s_addc_u32 s43, s31, s21
	s_add_i32 s3, s20, s3
	s_mul_i32 s9, s9, s2
	s_add_i32 s3, s3, s9
	s_mul_i32 s2, s8, s2
	s_lshl_b64 s[2:3], s[2:3], 1
	v_mov_b32_e32 v1, 0
	s_add_u32 s44, s40, s2
	v_mov_b64_e32 v[2:3], v[0:1]
	v_cmp_gt_i64_e64 s[0:1], s[24:25], v[0:1]
	s_addc_u32 s45, s41, s3
	v_lshlrev_b64 v[4:5], 27, v[0:1]
	s_mov_b32 s46, 0x1000706
	s_movk_i32 s47, 0xffe0
	v_mov_b64_e32 v[6:7], s[38:39]
	s_mov_b64 s[2:3], s[4:5]
	s_branch .LBB37_3
.LBB37_2:                               ;   in Loop: Header=BB37_3 Depth=1
	s_or_b64 exec, exec, s[8:9]
	s_add_u32 s2, s2, s34
	s_addc_u32 s3, s3, 0
	v_cmp_ge_i64_e32 vcc, s[2:3], v[6:7]
	s_cbranch_vccnz .LBB37_6
.LBB37_3:                               ; =>This Loop Header: Depth=1
                                        ;     Child Loop BB37_5 Depth 2
	s_and_saveexec_b64 s[8:9], s[0:1]
	s_cbranch_execz .LBB37_2
; %bb.4:                                ;   in Loop: Header=BB37_3 Depth=1
	s_mul_hi_u32 s4, s2, s33
	s_add_i32 s4, s4, s2
	s_lshr_b32 s4, s4, s6
	s_mul_i32 s20, s4, s7
	s_sub_i32 s38, s2, s20
	s_ashr_i32 s39, s4, 31
	s_mul_i32 s20, s22, s39
	s_mul_hi_u32 s21, s22, s4
	s_ashr_i32 s40, s38, 31
	s_add_i32 s20, s21, s20
	s_mul_i32 s21, s23, s4
	s_mul_i32 s30, s26, s40
	s_mul_hi_u32 s31, s26, s38
	s_add_i32 s21, s20, s21
	s_mul_i32 s20, s22, s4
	s_add_i32 s30, s31, s30
	s_mul_i32 s31, s27, s38
	s_add_i32 s31, s30, s31
	s_lshl_b64 s[20:21], s[20:21], 2
	s_mul_i32 s30, s26, s38
	s_add_u32 s41, s42, s20
	s_addc_u32 s48, s43, s21
	s_lshl_b64 s[20:21], s[30:31], 2
	s_add_u32 s20, s41, s20
	s_addc_u32 s21, s48, s21
	s_load_dword s30, s[20:21], 0x0
	s_mul_i32 s20, s10, s39
	s_mul_hi_u32 s21, s10, s4
	s_add_i32 s20, s21, s20
	s_mul_i32 s21, s11, s4
	s_add_i32 s21, s20, s21
	s_mul_i32 s20, s10, s4
	s_waitcnt lgkmcnt(0)
	s_ashr_i32 s31, s30, 31
	s_lshl_b64 s[20:21], s[20:21], 1
	s_add_u32 s41, s44, s20
	s_addc_u32 s48, s45, s21
	s_mul_i32 s20, s12, s40
	s_mul_hi_u32 s21, s12, s38
	s_add_i32 s20, s21, s20
	s_mul_i32 s21, s13, s38
	s_add_i32 s21, s20, s21
	s_mul_i32 s20, s12, s38
	s_lshl_b64 s[20:21], s[20:21], 1
	s_add_u32 s20, s41, s20
	s_mul_i32 s31, s14, s31
	s_mul_hi_u32 s41, s14, s30
	s_addc_u32 s21, s48, s21
	s_add_i32 s31, s41, s31
	s_mul_i32 s41, s15, s30
	s_add_i32 s31, s31, s41
	s_mul_i32 s30, s14, s30
	s_add_u32 s30, s28, s30
	s_mul_i32 s39, s16, s39
	s_mul_hi_u32 s41, s16, s4
	s_addc_u32 s31, s29, s31
	s_add_i32 s39, s41, s39
	s_mul_i32 s41, s17, s4
	s_add_i32 s39, s39, s41
	s_mul_i32 s4, s16, s4
	s_add_u32 s4, s30, s4
	s_mul_i32 s30, s18, s40
	s_load_dword s40, s[36:37], 0x4
	s_addc_u32 s31, s31, s39
	s_mul_hi_u32 s39, s18, s38
	s_add_i32 s30, s39, s30
	s_mul_i32 s39, s19, s38
	s_add_i32 s39, s30, s39
	s_mul_i32 s30, s18, s38
	s_add_u32 s30, s4, s30
	s_waitcnt lgkmcnt(0)
	s_mul_i32 s4, s40, s35
	s_addc_u32 s31, s31, s39
	s_lshl_b64 s[38:39], s[4:5], 27
	s_mov_b64 s[40:41], 0
	v_mov_b64_e32 v[8:9], v[4:5]
	v_mov_b64_e32 v[10:11], v[2:3]
.LBB37_5:                               ;   Parent Loop BB37_3 Depth=1
                                        ; =>  This Inner Loop Header: Depth=2
	v_bfe_u32 v0, v10, 1, 4
	v_mad_i64_i32 v[12:13], s[48:49], v9, 22, s[30:31]
	global_load_dword v14, v[12:13], off
	global_load_ushort v15, v[12:13], off offset:4
	v_lshl_add_u64 v[12:13], v[12:13], 0, v[0:1]
	global_load_ubyte v16, v[12:13], off offset:6
	v_add_u32_e32 v17, 12, v0
	v_and_or_b32 v12, v10, s47, v0
	v_lshl_add_u64 v[10:11], v[10:11], 0, s[4:5]
	v_ashrrev_i32_e32 v13, 31, v12
	v_cmp_le_i64_e32 vcc, s[24:25], v[10:11]
	v_lshl_add_u64 v[8:9], v[8:9], 0, s[38:39]
	v_lshl_add_u64 v[12:13], v[12:13], 1, s[20:21]
	s_or_b64 s[40:41], vcc, s[40:41]
	s_waitcnt vmcnt(2)
	v_cvt_f32_f16_e32 v18, v14
	s_waitcnt vmcnt(1)
	v_perm_b32 v14, v14, v15, s46
	v_lshrrev_b32_e32 v0, v0, v14
	v_lshrrev_b32_e32 v14, v17, v14
	s_waitcnt vmcnt(0)
	v_lshrrev_b16_e32 v15, 4, v16
	v_lshlrev_b32_e32 v0, 4, v0
	v_and_b32_e32 v14, 16, v14
	v_or_b32_e32 v15, -16, v15
	v_or_b32_e32 v16, -16, v16
	v_and_b32_e32 v0, 16, v0
	v_add_u32_sdwa v14, v14, sext(v15) dst_sel:DWORD dst_unused:UNUSED_PAD src0_sel:DWORD src1_sel:WORD_0
	v_add_u32_e32 v0, v16, v0
	v_cvt_f32_i32_e32 v14, v14
	v_cvt_f32_i32_e32 v0, v0
	v_mul_f32_e32 v14, v18, v14
	v_mul_f32_e32 v0, v18, v0
	v_cvt_pk_bf16_f32 v14, v14, s0
	v_cvt_pk_bf16_f32 v0, v0, s0
	global_store_short v[12:13], v14, off offset:32
	global_store_short v[12:13], v0, off
	s_andn2_b64 exec, exec, s[40:41]
	s_cbranch_execnz .LBB37_5
	s_branch .LBB37_2
.LBB37_6:
	s_endpgm
	.section	.rodata,"a",@progbits
	.p2align	6, 0x0
	.amdhsa_kernel _ZL10k_get_rowsILi32ELi2EXadL_ZL15dequantize_q5_0PKvliR15HIP_vector_typeIfLj2EEEE14__hip_bfloat16EvS1_PKiPT2_llS2_IjLj3EEmmmmmmmmm
		.amdhsa_group_segment_fixed_size 0
		.amdhsa_private_segment_fixed_size 0
		.amdhsa_kernarg_size 384
		.amdhsa_user_sgpr_count 2
		.amdhsa_user_sgpr_dispatch_ptr 0
		.amdhsa_user_sgpr_queue_ptr 0
		.amdhsa_user_sgpr_kernarg_segment_ptr 1
		.amdhsa_user_sgpr_dispatch_id 0
		.amdhsa_user_sgpr_kernarg_preload_length 0
		.amdhsa_user_sgpr_kernarg_preload_offset 0
		.amdhsa_user_sgpr_private_segment_size 0
		.amdhsa_uses_dynamic_stack 0
		.amdhsa_enable_private_segment 0
		.amdhsa_system_sgpr_workgroup_id_x 1
		.amdhsa_system_sgpr_workgroup_id_y 1
		.amdhsa_system_sgpr_workgroup_id_z 1
		.amdhsa_system_sgpr_workgroup_info 0
		.amdhsa_system_vgpr_workitem_id 0
		.amdhsa_next_free_vgpr 19
		.amdhsa_next_free_sgpr 50
		.amdhsa_accum_offset 20
		.amdhsa_reserve_vcc 1
		.amdhsa_float_round_mode_32 0
		.amdhsa_float_round_mode_16_64 0
		.amdhsa_float_denorm_mode_32 3
		.amdhsa_float_denorm_mode_16_64 3
		.amdhsa_dx10_clamp 1
		.amdhsa_ieee_mode 1
		.amdhsa_fp16_overflow 0
		.amdhsa_tg_split 0
		.amdhsa_exception_fp_ieee_invalid_op 0
		.amdhsa_exception_fp_denorm_src 0
		.amdhsa_exception_fp_ieee_div_zero 0
		.amdhsa_exception_fp_ieee_overflow 0
		.amdhsa_exception_fp_ieee_underflow 0
		.amdhsa_exception_fp_ieee_inexact 0
		.amdhsa_exception_int_div_zero 0
	.end_amdhsa_kernel
	.section	.text._ZL10k_get_rowsILi32ELi2EXadL_ZL15dequantize_q5_0PKvliR15HIP_vector_typeIfLj2EEEE14__hip_bfloat16EvS1_PKiPT2_llS2_IjLj3EEmmmmmmmmm,"axG",@progbits,_ZL10k_get_rowsILi32ELi2EXadL_ZL15dequantize_q5_0PKvliR15HIP_vector_typeIfLj2EEEE14__hip_bfloat16EvS1_PKiPT2_llS2_IjLj3EEmmmmmmmmm,comdat
.Lfunc_end37:
	.size	_ZL10k_get_rowsILi32ELi2EXadL_ZL15dequantize_q5_0PKvliR15HIP_vector_typeIfLj2EEEE14__hip_bfloat16EvS1_PKiPT2_llS2_IjLj3EEmmmmmmmmm, .Lfunc_end37-_ZL10k_get_rowsILi32ELi2EXadL_ZL15dequantize_q5_0PKvliR15HIP_vector_typeIfLj2EEEE14__hip_bfloat16EvS1_PKiPT2_llS2_IjLj3EEmmmmmmmmm
                                        ; -- End function
	.set _ZL10k_get_rowsILi32ELi2EXadL_ZL15dequantize_q5_0PKvliR15HIP_vector_typeIfLj2EEEE14__hip_bfloat16EvS1_PKiPT2_llS2_IjLj3EEmmmmmmmmm.num_vgpr, 19
	.set _ZL10k_get_rowsILi32ELi2EXadL_ZL15dequantize_q5_0PKvliR15HIP_vector_typeIfLj2EEEE14__hip_bfloat16EvS1_PKiPT2_llS2_IjLj3EEmmmmmmmmm.num_agpr, 0
	.set _ZL10k_get_rowsILi32ELi2EXadL_ZL15dequantize_q5_0PKvliR15HIP_vector_typeIfLj2EEEE14__hip_bfloat16EvS1_PKiPT2_llS2_IjLj3EEmmmmmmmmm.numbered_sgpr, 50
	.set _ZL10k_get_rowsILi32ELi2EXadL_ZL15dequantize_q5_0PKvliR15HIP_vector_typeIfLj2EEEE14__hip_bfloat16EvS1_PKiPT2_llS2_IjLj3EEmmmmmmmmm.num_named_barrier, 0
	.set _ZL10k_get_rowsILi32ELi2EXadL_ZL15dequantize_q5_0PKvliR15HIP_vector_typeIfLj2EEEE14__hip_bfloat16EvS1_PKiPT2_llS2_IjLj3EEmmmmmmmmm.private_seg_size, 0
	.set _ZL10k_get_rowsILi32ELi2EXadL_ZL15dequantize_q5_0PKvliR15HIP_vector_typeIfLj2EEEE14__hip_bfloat16EvS1_PKiPT2_llS2_IjLj3EEmmmmmmmmm.uses_vcc, 1
	.set _ZL10k_get_rowsILi32ELi2EXadL_ZL15dequantize_q5_0PKvliR15HIP_vector_typeIfLj2EEEE14__hip_bfloat16EvS1_PKiPT2_llS2_IjLj3EEmmmmmmmmm.uses_flat_scratch, 0
	.set _ZL10k_get_rowsILi32ELi2EXadL_ZL15dequantize_q5_0PKvliR15HIP_vector_typeIfLj2EEEE14__hip_bfloat16EvS1_PKiPT2_llS2_IjLj3EEmmmmmmmmm.has_dyn_sized_stack, 0
	.set _ZL10k_get_rowsILi32ELi2EXadL_ZL15dequantize_q5_0PKvliR15HIP_vector_typeIfLj2EEEE14__hip_bfloat16EvS1_PKiPT2_llS2_IjLj3EEmmmmmmmmm.has_recursion, 0
	.set _ZL10k_get_rowsILi32ELi2EXadL_ZL15dequantize_q5_0PKvliR15HIP_vector_typeIfLj2EEEE14__hip_bfloat16EvS1_PKiPT2_llS2_IjLj3EEmmmmmmmmm.has_indirect_call, 0
	.section	.AMDGPU.csdata,"",@progbits
; Kernel info:
; codeLenInByte = 832
; TotalNumSgprs: 56
; NumVgprs: 19
; NumAgprs: 0
; TotalNumVgprs: 19
; ScratchSize: 0
; MemoryBound: 0
; FloatMode: 240
; IeeeMode: 1
; LDSByteSize: 0 bytes/workgroup (compile time only)
; SGPRBlocks: 6
; VGPRBlocks: 2
; NumSGPRsForWavesPerEU: 56
; NumVGPRsForWavesPerEU: 19
; AccumOffset: 20
; Occupancy: 8
; WaveLimiterHint : 1
; COMPUTE_PGM_RSRC2:SCRATCH_EN: 0
; COMPUTE_PGM_RSRC2:USER_SGPR: 2
; COMPUTE_PGM_RSRC2:TRAP_HANDLER: 0
; COMPUTE_PGM_RSRC2:TGID_X_EN: 1
; COMPUTE_PGM_RSRC2:TGID_Y_EN: 1
; COMPUTE_PGM_RSRC2:TGID_Z_EN: 1
; COMPUTE_PGM_RSRC2:TIDIG_COMP_CNT: 0
; COMPUTE_PGM_RSRC3_GFX90A:ACCUM_OFFSET: 4
; COMPUTE_PGM_RSRC3_GFX90A:TG_SPLIT: 0
	.section	.text._ZL10k_get_rowsILi32ELi2EXadL_ZL15dequantize_q5_1PKvliR15HIP_vector_typeIfLj2EEEE14__hip_bfloat16EvS1_PKiPT2_llS2_IjLj3EEmmmmmmmmm,"axG",@progbits,_ZL10k_get_rowsILi32ELi2EXadL_ZL15dequantize_q5_1PKvliR15HIP_vector_typeIfLj2EEEE14__hip_bfloat16EvS1_PKiPT2_llS2_IjLj3EEmmmmmmmmm,comdat
	.globl	_ZL10k_get_rowsILi32ELi2EXadL_ZL15dequantize_q5_1PKvliR15HIP_vector_typeIfLj2EEEE14__hip_bfloat16EvS1_PKiPT2_llS2_IjLj3EEmmmmmmmmm ; -- Begin function _ZL10k_get_rowsILi32ELi2EXadL_ZL15dequantize_q5_1PKvliR15HIP_vector_typeIfLj2EEEE14__hip_bfloat16EvS1_PKiPT2_llS2_IjLj3EEmmmmmmmmm
	.p2align	8
	.type	_ZL10k_get_rowsILi32ELi2EXadL_ZL15dequantize_q5_1PKvliR15HIP_vector_typeIfLj2EEEE14__hip_bfloat16EvS1_PKiPT2_llS2_IjLj3EEmmmmmmmmm,@function
_ZL10k_get_rowsILi32ELi2EXadL_ZL15dequantize_q5_1PKvliR15HIP_vector_typeIfLj2EEEE14__hip_bfloat16EvS1_PKiPT2_llS2_IjLj3EEmmmmmmmmm: ; @_ZL10k_get_rowsILi32ELi2EXadL_ZL15dequantize_q5_1PKvliR15HIP_vector_typeIfLj2EEEE14__hip_bfloat16EvS1_PKiPT2_llS2_IjLj3EEmmmmmmmmm
; %bb.0:
	s_load_dwordx4 s[24:27], s[0:1], 0x18
	s_load_dwordx2 s[6:7], s[0:1], 0x2c
	s_mov_b32 s5, 0
	v_mov_b64_e32 v[2:3], s[4:5]
	s_waitcnt lgkmcnt(0)
	s_mul_i32 s8, s27, s7
	s_mul_hi_u32 s9, s26, s7
	s_add_i32 s39, s9, s8
	s_mul_i32 s38, s26, s7
	v_cmp_le_i64_e32 vcc, s[38:39], v[2:3]
	s_cbranch_vccnz .LBB38_6
; %bb.1:
	s_load_dwordx4 s[28:31], s[0:1], 0x0
	s_load_dwordx2 s[40:41], s[0:1], 0x10
	s_load_dwordx2 s[26:27], s[0:1], 0x78
	;; [unrolled: 1-line block ×3, first 2 shown]
	s_load_dword s33, s[0:1], 0x28
	s_load_dwordx16 s[8:23], s[0:1], 0x38
	s_add_u32 s36, s0, 0x80
	s_addc_u32 s37, s1, 0
	s_waitcnt lgkmcnt(0)
	s_and_b32 s35, s35, 0xffff
	s_mul_i32 s3, s3, s35
	v_add_lshl_u32 v0, s3, v0, 1
	s_ashr_i32 s3, s2, 31
	s_mul_hi_u32 s42, s20, s2
	s_mul_i32 s43, s20, s3
	s_add_i32 s42, s42, s43
	s_mul_i32 s21, s21, s2
	s_add_i32 s21, s42, s21
	s_mul_i32 s20, s20, s2
	s_lshl_b64 s[20:21], s[20:21], 2
	s_add_u32 s42, s30, s20
	s_mul_hi_u32 s20, s8, s2
	s_mul_i32 s3, s8, s3
	s_addc_u32 s43, s31, s21
	s_add_i32 s3, s20, s3
	s_mul_i32 s9, s9, s2
	s_add_i32 s3, s3, s9
	s_mul_i32 s2, s8, s2
	s_lshl_b64 s[2:3], s[2:3], 1
	v_mov_b32_e32 v1, 0
	s_add_u32 s44, s40, s2
	v_mov_b64_e32 v[2:3], v[0:1]
	v_cmp_gt_i64_e64 s[0:1], s[24:25], v[0:1]
	s_addc_u32 s45, s41, s3
	v_lshlrev_b64 v[4:5], 27, v[0:1]
	s_movk_i32 s46, 0xffe0
	v_mov_b64_e32 v[6:7], s[38:39]
	s_mov_b64 s[2:3], s[4:5]
	s_branch .LBB38_3
.LBB38_2:                               ;   in Loop: Header=BB38_3 Depth=1
	s_or_b64 exec, exec, s[8:9]
	s_add_u32 s2, s2, s34
	s_addc_u32 s3, s3, 0
	v_cmp_ge_i64_e32 vcc, s[2:3], v[6:7]
	s_cbranch_vccnz .LBB38_6
.LBB38_3:                               ; =>This Loop Header: Depth=1
                                        ;     Child Loop BB38_5 Depth 2
	s_and_saveexec_b64 s[8:9], s[0:1]
	s_cbranch_execz .LBB38_2
; %bb.4:                                ;   in Loop: Header=BB38_3 Depth=1
	s_mul_hi_u32 s4, s2, s33
	s_add_i32 s4, s4, s2
	s_lshr_b32 s4, s4, s6
	s_mul_i32 s20, s4, s7
	s_sub_i32 s38, s2, s20
	s_ashr_i32 s39, s4, 31
	s_mul_i32 s20, s22, s39
	s_mul_hi_u32 s21, s22, s4
	s_ashr_i32 s40, s38, 31
	s_add_i32 s20, s21, s20
	s_mul_i32 s21, s23, s4
	s_mul_i32 s30, s26, s40
	s_mul_hi_u32 s31, s26, s38
	s_add_i32 s21, s20, s21
	s_mul_i32 s20, s22, s4
	s_add_i32 s30, s31, s30
	s_mul_i32 s31, s27, s38
	s_add_i32 s31, s30, s31
	s_lshl_b64 s[20:21], s[20:21], 2
	s_mul_i32 s30, s26, s38
	s_add_u32 s41, s42, s20
	s_addc_u32 s47, s43, s21
	s_lshl_b64 s[20:21], s[30:31], 2
	s_add_u32 s20, s41, s20
	s_addc_u32 s21, s47, s21
	s_load_dword s30, s[20:21], 0x0
	s_mul_i32 s20, s10, s39
	s_mul_hi_u32 s21, s10, s4
	s_add_i32 s20, s21, s20
	s_mul_i32 s21, s11, s4
	s_add_i32 s21, s20, s21
	s_mul_i32 s20, s10, s4
	s_waitcnt lgkmcnt(0)
	s_ashr_i32 s31, s30, 31
	s_lshl_b64 s[20:21], s[20:21], 1
	s_add_u32 s41, s44, s20
	s_addc_u32 s47, s45, s21
	s_mul_i32 s20, s12, s40
	s_mul_hi_u32 s21, s12, s38
	s_add_i32 s20, s21, s20
	s_mul_i32 s21, s13, s38
	s_add_i32 s21, s20, s21
	s_mul_i32 s20, s12, s38
	s_lshl_b64 s[20:21], s[20:21], 1
	s_add_u32 s20, s41, s20
	s_mul_i32 s31, s14, s31
	s_mul_hi_u32 s41, s14, s30
	s_addc_u32 s21, s47, s21
	s_add_i32 s31, s41, s31
	s_mul_i32 s41, s15, s30
	s_add_i32 s31, s31, s41
	s_mul_i32 s30, s14, s30
	s_add_u32 s30, s28, s30
	s_mul_i32 s39, s16, s39
	s_mul_hi_u32 s41, s16, s4
	s_addc_u32 s31, s29, s31
	s_add_i32 s39, s41, s39
	s_mul_i32 s41, s17, s4
	s_add_i32 s39, s39, s41
	s_mul_i32 s4, s16, s4
	s_add_u32 s4, s30, s4
	s_mul_i32 s30, s18, s40
	s_load_dword s40, s[36:37], 0x4
	s_addc_u32 s31, s31, s39
	s_mul_hi_u32 s39, s18, s38
	s_add_i32 s30, s39, s30
	s_mul_i32 s39, s19, s38
	s_add_i32 s39, s30, s39
	s_mul_i32 s30, s18, s38
	s_add_u32 s30, s4, s30
	s_waitcnt lgkmcnt(0)
	s_mul_i32 s4, s40, s35
	s_addc_u32 s31, s31, s39
	s_lshl_b64 s[38:39], s[4:5], 27
	s_mov_b64 s[40:41], 0
	v_mov_b64_e32 v[8:9], v[4:5]
	v_mov_b64_e32 v[10:11], v[2:3]
.LBB38_5:                               ;   Parent Loop BB38_3 Depth=1
                                        ; =>  This Inner Loop Header: Depth=2
	v_bfe_u32 v0, v10, 1, 4
	v_mad_i64_i32 v[12:13], s[48:49], v9, 24, s[30:31]
	global_load_dwordx2 v[14:15], v[12:13], off
	v_lshl_add_u64 v[12:13], v[12:13], 0, v[0:1]
	global_load_ubyte v16, v[12:13], off offset:8
	v_add_u32_e32 v17, 12, v0
	v_and_or_b32 v12, v10, s46, v0
	v_lshl_add_u64 v[10:11], v[10:11], 0, s[4:5]
	v_ashrrev_i32_e32 v13, 31, v12
	v_cmp_le_i64_e32 vcc, s[24:25], v[10:11]
	v_lshl_add_u64 v[8:9], v[8:9], 0, s[38:39]
	v_lshl_add_u64 v[12:13], v[12:13], 1, s[20:21]
	s_or_b64 s[40:41], vcc, s[40:41]
	s_waitcnt vmcnt(1)
	v_lshrrev_b32_e32 v0, v0, v15
	v_lshrrev_b32_e32 v15, v17, v15
	v_lshlrev_b32_e32 v0, 4, v0
	s_waitcnt vmcnt(0)
	v_and_b32_e32 v17, 15, v16
	v_lshrrev_b16_e32 v16, 4, v16
	v_and_or_b32 v0, v0, 16, v17
	v_and_or_b32 v15, v15, 16, v16
	v_cvt_f32_ubyte0_e32 v0, v0
	v_cvt_f32_ubyte0_e32 v15, v15
	v_fma_mix_f32 v0, v14, v0, v14 op_sel:[0,0,1] op_sel_hi:[1,0,1]
	v_fma_mix_f32 v14, v14, v15, v14 op_sel:[0,0,1] op_sel_hi:[1,0,1]
	v_cvt_pk_bf16_f32 v0, v0, s0
	v_cvt_pk_bf16_f32 v14, v14, s0
	global_store_short v[12:13], v0, off
	global_store_short v[12:13], v14, off offset:32
	s_andn2_b64 exec, exec, s[40:41]
	s_cbranch_execnz .LBB38_5
	s_branch .LBB38_2
.LBB38_6:
	s_endpgm
	.section	.rodata,"a",@progbits
	.p2align	6, 0x0
	.amdhsa_kernel _ZL10k_get_rowsILi32ELi2EXadL_ZL15dequantize_q5_1PKvliR15HIP_vector_typeIfLj2EEEE14__hip_bfloat16EvS1_PKiPT2_llS2_IjLj3EEmmmmmmmmm
		.amdhsa_group_segment_fixed_size 0
		.amdhsa_private_segment_fixed_size 0
		.amdhsa_kernarg_size 384
		.amdhsa_user_sgpr_count 2
		.amdhsa_user_sgpr_dispatch_ptr 0
		.amdhsa_user_sgpr_queue_ptr 0
		.amdhsa_user_sgpr_kernarg_segment_ptr 1
		.amdhsa_user_sgpr_dispatch_id 0
		.amdhsa_user_sgpr_kernarg_preload_length 0
		.amdhsa_user_sgpr_kernarg_preload_offset 0
		.amdhsa_user_sgpr_private_segment_size 0
		.amdhsa_uses_dynamic_stack 0
		.amdhsa_enable_private_segment 0
		.amdhsa_system_sgpr_workgroup_id_x 1
		.amdhsa_system_sgpr_workgroup_id_y 1
		.amdhsa_system_sgpr_workgroup_id_z 1
		.amdhsa_system_sgpr_workgroup_info 0
		.amdhsa_system_vgpr_workitem_id 0
		.amdhsa_next_free_vgpr 18
		.amdhsa_next_free_sgpr 50
		.amdhsa_accum_offset 20
		.amdhsa_reserve_vcc 1
		.amdhsa_float_round_mode_32 0
		.amdhsa_float_round_mode_16_64 0
		.amdhsa_float_denorm_mode_32 3
		.amdhsa_float_denorm_mode_16_64 3
		.amdhsa_dx10_clamp 1
		.amdhsa_ieee_mode 1
		.amdhsa_fp16_overflow 0
		.amdhsa_tg_split 0
		.amdhsa_exception_fp_ieee_invalid_op 0
		.amdhsa_exception_fp_denorm_src 0
		.amdhsa_exception_fp_ieee_div_zero 0
		.amdhsa_exception_fp_ieee_overflow 0
		.amdhsa_exception_fp_ieee_underflow 0
		.amdhsa_exception_fp_ieee_inexact 0
		.amdhsa_exception_int_div_zero 0
	.end_amdhsa_kernel
	.section	.text._ZL10k_get_rowsILi32ELi2EXadL_ZL15dequantize_q5_1PKvliR15HIP_vector_typeIfLj2EEEE14__hip_bfloat16EvS1_PKiPT2_llS2_IjLj3EEmmmmmmmmm,"axG",@progbits,_ZL10k_get_rowsILi32ELi2EXadL_ZL15dequantize_q5_1PKvliR15HIP_vector_typeIfLj2EEEE14__hip_bfloat16EvS1_PKiPT2_llS2_IjLj3EEmmmmmmmmm,comdat
.Lfunc_end38:
	.size	_ZL10k_get_rowsILi32ELi2EXadL_ZL15dequantize_q5_1PKvliR15HIP_vector_typeIfLj2EEEE14__hip_bfloat16EvS1_PKiPT2_llS2_IjLj3EEmmmmmmmmm, .Lfunc_end38-_ZL10k_get_rowsILi32ELi2EXadL_ZL15dequantize_q5_1PKvliR15HIP_vector_typeIfLj2EEEE14__hip_bfloat16EvS1_PKiPT2_llS2_IjLj3EEmmmmmmmmm
                                        ; -- End function
	.set _ZL10k_get_rowsILi32ELi2EXadL_ZL15dequantize_q5_1PKvliR15HIP_vector_typeIfLj2EEEE14__hip_bfloat16EvS1_PKiPT2_llS2_IjLj3EEmmmmmmmmm.num_vgpr, 18
	.set _ZL10k_get_rowsILi32ELi2EXadL_ZL15dequantize_q5_1PKvliR15HIP_vector_typeIfLj2EEEE14__hip_bfloat16EvS1_PKiPT2_llS2_IjLj3EEmmmmmmmmm.num_agpr, 0
	.set _ZL10k_get_rowsILi32ELi2EXadL_ZL15dequantize_q5_1PKvliR15HIP_vector_typeIfLj2EEEE14__hip_bfloat16EvS1_PKiPT2_llS2_IjLj3EEmmmmmmmmm.numbered_sgpr, 50
	.set _ZL10k_get_rowsILi32ELi2EXadL_ZL15dequantize_q5_1PKvliR15HIP_vector_typeIfLj2EEEE14__hip_bfloat16EvS1_PKiPT2_llS2_IjLj3EEmmmmmmmmm.num_named_barrier, 0
	.set _ZL10k_get_rowsILi32ELi2EXadL_ZL15dequantize_q5_1PKvliR15HIP_vector_typeIfLj2EEEE14__hip_bfloat16EvS1_PKiPT2_llS2_IjLj3EEmmmmmmmmm.private_seg_size, 0
	.set _ZL10k_get_rowsILi32ELi2EXadL_ZL15dequantize_q5_1PKvliR15HIP_vector_typeIfLj2EEEE14__hip_bfloat16EvS1_PKiPT2_llS2_IjLj3EEmmmmmmmmm.uses_vcc, 1
	.set _ZL10k_get_rowsILi32ELi2EXadL_ZL15dequantize_q5_1PKvliR15HIP_vector_typeIfLj2EEEE14__hip_bfloat16EvS1_PKiPT2_llS2_IjLj3EEmmmmmmmmm.uses_flat_scratch, 0
	.set _ZL10k_get_rowsILi32ELi2EXadL_ZL15dequantize_q5_1PKvliR15HIP_vector_typeIfLj2EEEE14__hip_bfloat16EvS1_PKiPT2_llS2_IjLj3EEmmmmmmmmm.has_dyn_sized_stack, 0
	.set _ZL10k_get_rowsILi32ELi2EXadL_ZL15dequantize_q5_1PKvliR15HIP_vector_typeIfLj2EEEE14__hip_bfloat16EvS1_PKiPT2_llS2_IjLj3EEmmmmmmmmm.has_recursion, 0
	.set _ZL10k_get_rowsILi32ELi2EXadL_ZL15dequantize_q5_1PKvliR15HIP_vector_typeIfLj2EEEE14__hip_bfloat16EvS1_PKiPT2_llS2_IjLj3EEmmmmmmmmm.has_indirect_call, 0
	.section	.AMDGPU.csdata,"",@progbits
; Kernel info:
; codeLenInByte = 800
; TotalNumSgprs: 56
; NumVgprs: 18
; NumAgprs: 0
; TotalNumVgprs: 18
; ScratchSize: 0
; MemoryBound: 0
; FloatMode: 240
; IeeeMode: 1
; LDSByteSize: 0 bytes/workgroup (compile time only)
; SGPRBlocks: 6
; VGPRBlocks: 2
; NumSGPRsForWavesPerEU: 56
; NumVGPRsForWavesPerEU: 18
; AccumOffset: 20
; Occupancy: 8
; WaveLimiterHint : 1
; COMPUTE_PGM_RSRC2:SCRATCH_EN: 0
; COMPUTE_PGM_RSRC2:USER_SGPR: 2
; COMPUTE_PGM_RSRC2:TRAP_HANDLER: 0
; COMPUTE_PGM_RSRC2:TGID_X_EN: 1
; COMPUTE_PGM_RSRC2:TGID_Y_EN: 1
; COMPUTE_PGM_RSRC2:TGID_Z_EN: 1
; COMPUTE_PGM_RSRC2:TIDIG_COMP_CNT: 0
; COMPUTE_PGM_RSRC3_GFX90A:ACCUM_OFFSET: 4
; COMPUTE_PGM_RSRC3_GFX90A:TG_SPLIT: 0
	.section	.text._ZL10k_get_rowsILi32ELi1EXadL_ZL15dequantize_q8_0PKvliR15HIP_vector_typeIfLj2EEEE14__hip_bfloat16EvS1_PKiPT2_llS2_IjLj3EEmmmmmmmmm,"axG",@progbits,_ZL10k_get_rowsILi32ELi1EXadL_ZL15dequantize_q8_0PKvliR15HIP_vector_typeIfLj2EEEE14__hip_bfloat16EvS1_PKiPT2_llS2_IjLj3EEmmmmmmmmm,comdat
	.globl	_ZL10k_get_rowsILi32ELi1EXadL_ZL15dequantize_q8_0PKvliR15HIP_vector_typeIfLj2EEEE14__hip_bfloat16EvS1_PKiPT2_llS2_IjLj3EEmmmmmmmmm ; -- Begin function _ZL10k_get_rowsILi32ELi1EXadL_ZL15dequantize_q8_0PKvliR15HIP_vector_typeIfLj2EEEE14__hip_bfloat16EvS1_PKiPT2_llS2_IjLj3EEmmmmmmmmm
	.p2align	8
	.type	_ZL10k_get_rowsILi32ELi1EXadL_ZL15dequantize_q8_0PKvliR15HIP_vector_typeIfLj2EEEE14__hip_bfloat16EvS1_PKiPT2_llS2_IjLj3EEmmmmmmmmm,@function
_ZL10k_get_rowsILi32ELi1EXadL_ZL15dequantize_q8_0PKvliR15HIP_vector_typeIfLj2EEEE14__hip_bfloat16EvS1_PKiPT2_llS2_IjLj3EEmmmmmmmmm: ; @_ZL10k_get_rowsILi32ELi1EXadL_ZL15dequantize_q8_0PKvliR15HIP_vector_typeIfLj2EEEE14__hip_bfloat16EvS1_PKiPT2_llS2_IjLj3EEmmmmmmmmm
; %bb.0:
	s_load_dwordx4 s[24:27], s[0:1], 0x18
	s_load_dwordx2 s[6:7], s[0:1], 0x2c
	s_mov_b32 s5, 0
	v_mov_b64_e32 v[2:3], s[4:5]
	s_waitcnt lgkmcnt(0)
	s_mul_i32 s8, s27, s7
	s_mul_hi_u32 s9, s26, s7
	s_add_i32 s39, s9, s8
	s_mul_i32 s38, s26, s7
	v_cmp_le_i64_e32 vcc, s[38:39], v[2:3]
	s_cbranch_vccnz .LBB39_6
; %bb.1:
	s_load_dwordx4 s[28:31], s[0:1], 0x0
	s_load_dwordx2 s[40:41], s[0:1], 0x10
	s_load_dwordx2 s[26:27], s[0:1], 0x78
	;; [unrolled: 1-line block ×3, first 2 shown]
	s_load_dword s33, s[0:1], 0x28
	s_load_dwordx16 s[8:23], s[0:1], 0x38
	s_add_u32 s36, s0, 0x80
	s_addc_u32 s37, s1, 0
	s_waitcnt lgkmcnt(0)
	s_and_b32 s35, s35, 0xffff
	s_mul_i32 s3, s3, s35
	v_add_lshl_u32 v0, s3, v0, 1
	s_ashr_i32 s3, s2, 31
	s_mul_hi_u32 s42, s20, s2
	s_mul_i32 s43, s20, s3
	s_add_i32 s42, s42, s43
	s_mul_i32 s21, s21, s2
	s_add_i32 s21, s42, s21
	s_mul_i32 s20, s20, s2
	s_lshl_b64 s[20:21], s[20:21], 2
	s_add_u32 s44, s30, s20
	s_mul_hi_u32 s20, s8, s2
	s_mul_i32 s3, s8, s3
	s_addc_u32 s45, s31, s21
	s_add_i32 s3, s20, s3
	s_mul_i32 s9, s9, s2
	s_add_i32 s3, s3, s9
	s_mul_i32 s2, s8, s2
	s_lshl_b64 s[2:3], s[2:3], 1
	v_mov_b32_e32 v1, 0
	s_add_u32 s46, s40, s2
	v_mov_b64_e32 v[2:3], v[0:1]
	v_cmp_gt_i64_e64 s[0:1], s[24:25], v[0:1]
	s_addc_u32 s47, s41, s3
	v_lshlrev_b64 v[4:5], 27, v[0:1]
	v_mov_b32_e32 v6, v1
	v_mov_b32_e32 v7, v0
	v_mov_b64_e32 v[8:9], s[38:39]
	s_mov_b64 s[2:3], s[4:5]
	s_branch .LBB39_3
.LBB39_2:                               ;   in Loop: Header=BB39_3 Depth=1
	s_or_b64 exec, exec, s[8:9]
	s_add_u32 s2, s2, s34
	s_addc_u32 s3, s3, 0
	v_cmp_ge_i64_e32 vcc, s[2:3], v[8:9]
	s_cbranch_vccnz .LBB39_6
.LBB39_3:                               ; =>This Loop Header: Depth=1
                                        ;     Child Loop BB39_5 Depth 2
	s_and_saveexec_b64 s[8:9], s[0:1]
	s_cbranch_execz .LBB39_2
; %bb.4:                                ;   in Loop: Header=BB39_3 Depth=1
	s_mul_hi_u32 s4, s2, s33
	s_add_i32 s4, s4, s2
	s_lshr_b32 s4, s4, s6
	s_mul_i32 s20, s4, s7
	s_sub_i32 s38, s2, s20
	s_ashr_i32 s39, s4, 31
	s_mul_i32 s20, s22, s39
	s_mul_hi_u32 s21, s22, s4
	s_ashr_i32 s40, s38, 31
	s_add_i32 s20, s21, s20
	s_mul_i32 s21, s23, s4
	s_mul_i32 s30, s26, s40
	s_mul_hi_u32 s31, s26, s38
	s_add_i32 s21, s20, s21
	s_mul_i32 s20, s22, s4
	s_add_i32 s30, s31, s30
	s_mul_i32 s31, s27, s38
	s_add_i32 s31, s30, s31
	s_lshl_b64 s[20:21], s[20:21], 2
	s_mul_i32 s30, s26, s38
	s_add_u32 s41, s44, s20
	s_addc_u32 s42, s45, s21
	s_lshl_b64 s[20:21], s[30:31], 2
	s_add_u32 s20, s41, s20
	s_addc_u32 s21, s42, s21
	s_load_dword s30, s[20:21], 0x0
	s_mul_i32 s20, s10, s39
	s_mul_hi_u32 s21, s10, s4
	s_add_i32 s20, s21, s20
	s_mul_i32 s21, s11, s4
	s_add_i32 s21, s20, s21
	s_mul_i32 s20, s10, s4
	s_waitcnt lgkmcnt(0)
	s_ashr_i32 s31, s30, 31
	s_lshl_b64 s[20:21], s[20:21], 1
	s_add_u32 s41, s46, s20
	s_addc_u32 s42, s47, s21
	s_mul_i32 s20, s12, s40
	s_mul_hi_u32 s21, s12, s38
	s_add_i32 s20, s21, s20
	s_mul_i32 s21, s13, s38
	s_add_i32 s21, s20, s21
	s_mul_i32 s20, s12, s38
	s_lshl_b64 s[20:21], s[20:21], 1
	s_add_u32 s20, s41, s20
	s_mul_i32 s31, s14, s31
	s_mul_hi_u32 s41, s14, s30
	s_addc_u32 s21, s42, s21
	s_add_i32 s31, s41, s31
	s_mul_i32 s41, s15, s30
	s_add_i32 s31, s31, s41
	s_mul_i32 s30, s14, s30
	s_add_u32 s30, s28, s30
	s_mul_i32 s39, s16, s39
	s_mul_hi_u32 s41, s16, s4
	s_addc_u32 s31, s29, s31
	s_add_i32 s39, s41, s39
	s_mul_i32 s41, s17, s4
	s_add_i32 s39, s39, s41
	s_mul_i32 s4, s16, s4
	s_add_u32 s4, s30, s4
	s_mul_i32 s30, s18, s40
	s_load_dword s40, s[36:37], 0x4
	s_addc_u32 s31, s31, s39
	s_mul_hi_u32 s39, s18, s38
	s_add_i32 s30, s39, s30
	s_mul_i32 s39, s19, s38
	s_add_i32 s39, s30, s39
	s_mul_i32 s30, s18, s38
	s_add_u32 s30, s4, s30
	s_waitcnt lgkmcnt(0)
	s_mul_i32 s4, s40, s35
	s_addc_u32 s31, s31, s39
	s_lshl_b64 s[38:39], s[4:5], 27
	s_mov_b32 s40, s5
	s_mov_b32 s41, s4
	s_mov_b64 s[42:43], 0
	v_mov_b64_e32 v[10:11], v[6:7]
	v_mov_b64_e32 v[12:13], v[4:5]
	;; [unrolled: 1-line block ×3, first 2 shown]
.LBB39_5:                               ;   Parent Loop BB39_3 Depth=1
                                        ; =>  This Inner Loop Header: Depth=2
	v_mad_i64_i32 v[16:17], s[48:49], v13, 34, s[30:31]
	v_and_b32_e32 v0, 31, v14
	v_lshl_add_u64 v[18:19], v[16:17], 0, v[0:1]
	global_load_ushort v0, v[16:17], off
	global_load_ushort v20, v[18:19], off offset:2
	v_lshl_add_u64 v[14:15], v[14:15], 0, s[4:5]
	v_ashrrev_i64 v[16:17], 31, v[10:11]
	v_cmp_le_i64_e32 vcc, s[24:25], v[14:15]
	v_lshl_add_u64 v[12:13], v[12:13], 0, s[38:39]
	v_lshl_add_u64 v[10:11], v[10:11], 0, s[40:41]
	;; [unrolled: 1-line block ×3, first 2 shown]
	s_or_b64 s[42:43], vcc, s[42:43]
	s_waitcnt vmcnt(1)
	v_cvt_f32_f16_e32 v0, v0
	s_waitcnt vmcnt(0)
	v_bfe_i32 v18, v20, 0, 8
	v_ashrrev_i16_e32 v19, 8, v20
	v_cvt_f32_i32_sdwa v19, sext(v19) dst_sel:DWORD dst_unused:UNUSED_PAD src0_sel:WORD_0
	v_cvt_f32_i32_sdwa v18, sext(v18) dst_sel:DWORD dst_unused:UNUSED_PAD src0_sel:WORD_0
	v_pk_mul_f32 v[18:19], v[0:1], v[18:19] op_sel_hi:[0,1]
	v_cvt_pk_bf16_f32 v0, v18, v19
	global_store_dword v[16:17], v0, off
	s_andn2_b64 exec, exec, s[42:43]
	s_cbranch_execnz .LBB39_5
	s_branch .LBB39_2
.LBB39_6:
	s_endpgm
	.section	.rodata,"a",@progbits
	.p2align	6, 0x0
	.amdhsa_kernel _ZL10k_get_rowsILi32ELi1EXadL_ZL15dequantize_q8_0PKvliR15HIP_vector_typeIfLj2EEEE14__hip_bfloat16EvS1_PKiPT2_llS2_IjLj3EEmmmmmmmmm
		.amdhsa_group_segment_fixed_size 0
		.amdhsa_private_segment_fixed_size 0
		.amdhsa_kernarg_size 384
		.amdhsa_user_sgpr_count 2
		.amdhsa_user_sgpr_dispatch_ptr 0
		.amdhsa_user_sgpr_queue_ptr 0
		.amdhsa_user_sgpr_kernarg_segment_ptr 1
		.amdhsa_user_sgpr_dispatch_id 0
		.amdhsa_user_sgpr_kernarg_preload_length 0
		.amdhsa_user_sgpr_kernarg_preload_offset 0
		.amdhsa_user_sgpr_private_segment_size 0
		.amdhsa_uses_dynamic_stack 0
		.amdhsa_enable_private_segment 0
		.amdhsa_system_sgpr_workgroup_id_x 1
		.amdhsa_system_sgpr_workgroup_id_y 1
		.amdhsa_system_sgpr_workgroup_id_z 1
		.amdhsa_system_sgpr_workgroup_info 0
		.amdhsa_system_vgpr_workitem_id 0
		.amdhsa_next_free_vgpr 21
		.amdhsa_next_free_sgpr 50
		.amdhsa_accum_offset 24
		.amdhsa_reserve_vcc 1
		.amdhsa_float_round_mode_32 0
		.amdhsa_float_round_mode_16_64 0
		.amdhsa_float_denorm_mode_32 3
		.amdhsa_float_denorm_mode_16_64 3
		.amdhsa_dx10_clamp 1
		.amdhsa_ieee_mode 1
		.amdhsa_fp16_overflow 0
		.amdhsa_tg_split 0
		.amdhsa_exception_fp_ieee_invalid_op 0
		.amdhsa_exception_fp_denorm_src 0
		.amdhsa_exception_fp_ieee_div_zero 0
		.amdhsa_exception_fp_ieee_overflow 0
		.amdhsa_exception_fp_ieee_underflow 0
		.amdhsa_exception_fp_ieee_inexact 0
		.amdhsa_exception_int_div_zero 0
	.end_amdhsa_kernel
	.section	.text._ZL10k_get_rowsILi32ELi1EXadL_ZL15dequantize_q8_0PKvliR15HIP_vector_typeIfLj2EEEE14__hip_bfloat16EvS1_PKiPT2_llS2_IjLj3EEmmmmmmmmm,"axG",@progbits,_ZL10k_get_rowsILi32ELi1EXadL_ZL15dequantize_q8_0PKvliR15HIP_vector_typeIfLj2EEEE14__hip_bfloat16EvS1_PKiPT2_llS2_IjLj3EEmmmmmmmmm,comdat
.Lfunc_end39:
	.size	_ZL10k_get_rowsILi32ELi1EXadL_ZL15dequantize_q8_0PKvliR15HIP_vector_typeIfLj2EEEE14__hip_bfloat16EvS1_PKiPT2_llS2_IjLj3EEmmmmmmmmm, .Lfunc_end39-_ZL10k_get_rowsILi32ELi1EXadL_ZL15dequantize_q8_0PKvliR15HIP_vector_typeIfLj2EEEE14__hip_bfloat16EvS1_PKiPT2_llS2_IjLj3EEmmmmmmmmm
                                        ; -- End function
	.set _ZL10k_get_rowsILi32ELi1EXadL_ZL15dequantize_q8_0PKvliR15HIP_vector_typeIfLj2EEEE14__hip_bfloat16EvS1_PKiPT2_llS2_IjLj3EEmmmmmmmmm.num_vgpr, 21
	.set _ZL10k_get_rowsILi32ELi1EXadL_ZL15dequantize_q8_0PKvliR15HIP_vector_typeIfLj2EEEE14__hip_bfloat16EvS1_PKiPT2_llS2_IjLj3EEmmmmmmmmm.num_agpr, 0
	.set _ZL10k_get_rowsILi32ELi1EXadL_ZL15dequantize_q8_0PKvliR15HIP_vector_typeIfLj2EEEE14__hip_bfloat16EvS1_PKiPT2_llS2_IjLj3EEmmmmmmmmm.numbered_sgpr, 50
	.set _ZL10k_get_rowsILi32ELi1EXadL_ZL15dequantize_q8_0PKvliR15HIP_vector_typeIfLj2EEEE14__hip_bfloat16EvS1_PKiPT2_llS2_IjLj3EEmmmmmmmmm.num_named_barrier, 0
	.set _ZL10k_get_rowsILi32ELi1EXadL_ZL15dequantize_q8_0PKvliR15HIP_vector_typeIfLj2EEEE14__hip_bfloat16EvS1_PKiPT2_llS2_IjLj3EEmmmmmmmmm.private_seg_size, 0
	.set _ZL10k_get_rowsILi32ELi1EXadL_ZL15dequantize_q8_0PKvliR15HIP_vector_typeIfLj2EEEE14__hip_bfloat16EvS1_PKiPT2_llS2_IjLj3EEmmmmmmmmm.uses_vcc, 1
	.set _ZL10k_get_rowsILi32ELi1EXadL_ZL15dequantize_q8_0PKvliR15HIP_vector_typeIfLj2EEEE14__hip_bfloat16EvS1_PKiPT2_llS2_IjLj3EEmmmmmmmmm.uses_flat_scratch, 0
	.set _ZL10k_get_rowsILi32ELi1EXadL_ZL15dequantize_q8_0PKvliR15HIP_vector_typeIfLj2EEEE14__hip_bfloat16EvS1_PKiPT2_llS2_IjLj3EEmmmmmmmmm.has_dyn_sized_stack, 0
	.set _ZL10k_get_rowsILi32ELi1EXadL_ZL15dequantize_q8_0PKvliR15HIP_vector_typeIfLj2EEEE14__hip_bfloat16EvS1_PKiPT2_llS2_IjLj3EEmmmmmmmmm.has_recursion, 0
	.set _ZL10k_get_rowsILi32ELi1EXadL_ZL15dequantize_q8_0PKvliR15HIP_vector_typeIfLj2EEEE14__hip_bfloat16EvS1_PKiPT2_llS2_IjLj3EEmmmmmmmmm.has_indirect_call, 0
	.section	.AMDGPU.csdata,"",@progbits
; Kernel info:
; codeLenInByte = 776
; TotalNumSgprs: 56
; NumVgprs: 21
; NumAgprs: 0
; TotalNumVgprs: 21
; ScratchSize: 0
; MemoryBound: 0
; FloatMode: 240
; IeeeMode: 1
; LDSByteSize: 0 bytes/workgroup (compile time only)
; SGPRBlocks: 6
; VGPRBlocks: 2
; NumSGPRsForWavesPerEU: 56
; NumVGPRsForWavesPerEU: 21
; AccumOffset: 24
; Occupancy: 8
; WaveLimiterHint : 1
; COMPUTE_PGM_RSRC2:SCRATCH_EN: 0
; COMPUTE_PGM_RSRC2:USER_SGPR: 2
; COMPUTE_PGM_RSRC2:TRAP_HANDLER: 0
; COMPUTE_PGM_RSRC2:TGID_X_EN: 1
; COMPUTE_PGM_RSRC2:TGID_Y_EN: 1
; COMPUTE_PGM_RSRC2:TGID_Z_EN: 1
; COMPUTE_PGM_RSRC2:TIDIG_COMP_CNT: 0
; COMPUTE_PGM_RSRC3_GFX90A:ACCUM_OFFSET: 5
; COMPUTE_PGM_RSRC3_GFX90A:TG_SPLIT: 0
	.section	.text._ZL21k_get_rows_back_floatIffEvPKT_PKiPT0_ll,"axG",@progbits,_ZL21k_get_rows_back_floatIffEvPKT_PKiPT0_ll,comdat
	.globl	_ZL21k_get_rows_back_floatIffEvPKT_PKiPT0_ll ; -- Begin function _ZL21k_get_rows_back_floatIffEvPKT_PKiPT0_ll
	.p2align	8
	.type	_ZL21k_get_rows_back_floatIffEvPKT_PKiPT0_ll,@function
_ZL21k_get_rows_back_floatIffEvPKT_PKiPT0_ll: ; @_ZL21k_get_rows_back_floatIffEvPKT_PKiPT0_ll
; %bb.0:
	s_load_dword s8, s[0:1], 0x34
	s_load_dwordx4 s[4:7], s[0:1], 0x18
	s_add_u32 s10, s0, 40
	s_addc_u32 s11, s1, 0
	v_and_b32_e32 v1, 0x3ff, v0
	s_waitcnt lgkmcnt(0)
	s_and_b32 s8, s8, 0xffff
	s_mul_i32 s2, s2, s8
	v_add_u32_e32 v2, s2, v1
	v_ashrrev_i32_e32 v3, 31, v2
	v_cmp_gt_i64_e32 vcc, s[4:5], v[2:3]
	s_and_saveexec_b64 s[8:9], vcc
	s_cbranch_execz .LBB40_8
; %bb.1:
	s_load_dword s2, s[10:11], 0xc
	s_load_dwordx2 s[8:9], s[0:1], 0x10
	v_bfe_u32 v0, v0, 10, 10
	v_cmp_lt_i64_e64 s[10:11], s[6:7], 1
	s_and_b64 vcc, exec, s[10:11]
	s_waitcnt lgkmcnt(0)
	s_lshr_b32 s2, s2, 16
	s_mul_i32 s3, s3, s2
	v_add_u32_e32 v4, s3, v0
	s_cbranch_vccnz .LBB40_6
; %bb.2:
	s_load_dwordx4 s[0:3], s[0:1], 0x0
	s_lshl_b64 s[10:11], s[4:5], 2
	v_mov_b32_e32 v5, 0
	s_waitcnt lgkmcnt(0)
	v_lshl_add_u64 v[0:1], v[2:3], 2, s[0:1]
	s_branch .LBB40_4
.LBB40_3:                               ;   in Loop: Header=BB40_4 Depth=1
	s_or_b64 exec, exec, s[0:1]
	s_add_u32 s6, s6, -1
	s_addc_u32 s7, s7, -1
	s_add_u32 s2, s2, 4
	s_addc_u32 s3, s3, 0
	s_cmp_eq_u64 s[6:7], 0
	v_lshl_add_u64 v[0:1], v[0:1], 0, s[10:11]
	s_cbranch_scc1 .LBB40_7
.LBB40_4:                               ; =>This Inner Loop Header: Depth=1
	s_load_dword s0, s[2:3], 0x0
	s_waitcnt lgkmcnt(0)
	v_cmp_eq_u32_e32 vcc, s0, v4
	s_and_saveexec_b64 s[0:1], vcc
	s_cbranch_execz .LBB40_3
; %bb.5:                                ;   in Loop: Header=BB40_4 Depth=1
	global_load_dword v6, v[0:1], off
	s_waitcnt vmcnt(0)
	v_add_f32_e32 v5, v5, v6
	s_branch .LBB40_3
.LBB40_6:
	v_mov_b32_e32 v5, 0
.LBB40_7:
	v_ashrrev_i32_e32 v0, 31, v4
	v_mul_lo_u32 v6, s5, v4
	v_mul_lo_u32 v7, s4, v0
	v_mad_u64_u32 v[0:1], s[0:1], s4, v4, 0
	v_add3_u32 v1, v1, v7, v6
	v_lshl_add_u64 v[0:1], v[0:1], 2, s[8:9]
	v_lshl_add_u64 v[0:1], v[2:3], 2, v[0:1]
	global_store_dword v[0:1], v5, off
.LBB40_8:
	s_endpgm
	.section	.rodata,"a",@progbits
	.p2align	6, 0x0
	.amdhsa_kernel _ZL21k_get_rows_back_floatIffEvPKT_PKiPT0_ll
		.amdhsa_group_segment_fixed_size 0
		.amdhsa_private_segment_fixed_size 0
		.amdhsa_kernarg_size 296
		.amdhsa_user_sgpr_count 2
		.amdhsa_user_sgpr_dispatch_ptr 0
		.amdhsa_user_sgpr_queue_ptr 0
		.amdhsa_user_sgpr_kernarg_segment_ptr 1
		.amdhsa_user_sgpr_dispatch_id 0
		.amdhsa_user_sgpr_kernarg_preload_length 0
		.amdhsa_user_sgpr_kernarg_preload_offset 0
		.amdhsa_user_sgpr_private_segment_size 0
		.amdhsa_uses_dynamic_stack 0
		.amdhsa_enable_private_segment 0
		.amdhsa_system_sgpr_workgroup_id_x 1
		.amdhsa_system_sgpr_workgroup_id_y 1
		.amdhsa_system_sgpr_workgroup_id_z 0
		.amdhsa_system_sgpr_workgroup_info 0
		.amdhsa_system_vgpr_workitem_id 1
		.amdhsa_next_free_vgpr 8
		.amdhsa_next_free_sgpr 12
		.amdhsa_accum_offset 8
		.amdhsa_reserve_vcc 1
		.amdhsa_float_round_mode_32 0
		.amdhsa_float_round_mode_16_64 0
		.amdhsa_float_denorm_mode_32 3
		.amdhsa_float_denorm_mode_16_64 3
		.amdhsa_dx10_clamp 1
		.amdhsa_ieee_mode 1
		.amdhsa_fp16_overflow 0
		.amdhsa_tg_split 0
		.amdhsa_exception_fp_ieee_invalid_op 0
		.amdhsa_exception_fp_denorm_src 0
		.amdhsa_exception_fp_ieee_div_zero 0
		.amdhsa_exception_fp_ieee_overflow 0
		.amdhsa_exception_fp_ieee_underflow 0
		.amdhsa_exception_fp_ieee_inexact 0
		.amdhsa_exception_int_div_zero 0
	.end_amdhsa_kernel
	.section	.text._ZL21k_get_rows_back_floatIffEvPKT_PKiPT0_ll,"axG",@progbits,_ZL21k_get_rows_back_floatIffEvPKT_PKiPT0_ll,comdat
.Lfunc_end40:
	.size	_ZL21k_get_rows_back_floatIffEvPKT_PKiPT0_ll, .Lfunc_end40-_ZL21k_get_rows_back_floatIffEvPKT_PKiPT0_ll
                                        ; -- End function
	.set _ZL21k_get_rows_back_floatIffEvPKT_PKiPT0_ll.num_vgpr, 8
	.set _ZL21k_get_rows_back_floatIffEvPKT_PKiPT0_ll.num_agpr, 0
	.set _ZL21k_get_rows_back_floatIffEvPKT_PKiPT0_ll.numbered_sgpr, 12
	.set _ZL21k_get_rows_back_floatIffEvPKT_PKiPT0_ll.num_named_barrier, 0
	.set _ZL21k_get_rows_back_floatIffEvPKT_PKiPT0_ll.private_seg_size, 0
	.set _ZL21k_get_rows_back_floatIffEvPKT_PKiPT0_ll.uses_vcc, 1
	.set _ZL21k_get_rows_back_floatIffEvPKT_PKiPT0_ll.uses_flat_scratch, 0
	.set _ZL21k_get_rows_back_floatIffEvPKT_PKiPT0_ll.has_dyn_sized_stack, 0
	.set _ZL21k_get_rows_back_floatIffEvPKT_PKiPT0_ll.has_recursion, 0
	.set _ZL21k_get_rows_back_floatIffEvPKT_PKiPT0_ll.has_indirect_call, 0
	.section	.AMDGPU.csdata,"",@progbits
; Kernel info:
; codeLenInByte = 304
; TotalNumSgprs: 18
; NumVgprs: 8
; NumAgprs: 0
; TotalNumVgprs: 8
; ScratchSize: 0
; MemoryBound: 0
; FloatMode: 240
; IeeeMode: 1
; LDSByteSize: 0 bytes/workgroup (compile time only)
; SGPRBlocks: 2
; VGPRBlocks: 0
; NumSGPRsForWavesPerEU: 18
; NumVGPRsForWavesPerEU: 8
; AccumOffset: 8
; Occupancy: 8
; WaveLimiterHint : 0
; COMPUTE_PGM_RSRC2:SCRATCH_EN: 0
; COMPUTE_PGM_RSRC2:USER_SGPR: 2
; COMPUTE_PGM_RSRC2:TRAP_HANDLER: 0
; COMPUTE_PGM_RSRC2:TGID_X_EN: 1
; COMPUTE_PGM_RSRC2:TGID_Y_EN: 1
; COMPUTE_PGM_RSRC2:TGID_Z_EN: 0
; COMPUTE_PGM_RSRC2:TIDIG_COMP_CNT: 1
; COMPUTE_PGM_RSRC3_GFX90A:ACCUM_OFFSET: 1
; COMPUTE_PGM_RSRC3_GFX90A:TG_SPLIT: 0
	.section	.AMDGPU.gpr_maximums,"",@progbits
	.set amdgpu.max_num_vgpr, 0
	.set amdgpu.max_num_agpr, 0
	.set amdgpu.max_num_sgpr, 0
	.section	.AMDGPU.csdata,"",@progbits
	.type	__hip_cuid_2b4b844e6998a605,@object ; @__hip_cuid_2b4b844e6998a605
	.section	.bss,"aw",@nobits
	.globl	__hip_cuid_2b4b844e6998a605
__hip_cuid_2b4b844e6998a605:
	.byte	0                               ; 0x0
	.size	__hip_cuid_2b4b844e6998a605, 1

	.ident	"AMD clang version 22.0.0git (https://github.com/RadeonOpenCompute/llvm-project roc-7.2.4 26084 f58b06dce1f9c15707c5f808fd002e18c2accf7e)"
	.section	".note.GNU-stack","",@progbits
	.addrsig
	.addrsig_sym __hip_cuid_2b4b844e6998a605
	.amdgpu_metadata
---
amdhsa.kernels:
  - .agpr_count:     0
    .args:
      - .address_space:  global
        .offset:         0
        .size:           8
        .value_kind:     global_buffer
      - .address_space:  global
        .offset:         8
        .size:           8
        .value_kind:     global_buffer
      - .address_space:  global
        .offset:         16
        .size:           8
        .value_kind:     global_buffer
      - .offset:         24
        .size:           8
        .value_kind:     by_value
      - .offset:         32
        .size:           8
        .value_kind:     by_value
      - .offset:         40
        .size:           12
        .value_kind:     by_value
      - .offset:         56
        .size:           8
        .value_kind:     by_value
      - .offset:         64
        .size:           8
        .value_kind:     by_value
      - .offset:         72
        .size:           8
        .value_kind:     by_value
      - .offset:         80
        .size:           8
        .value_kind:     by_value
      - .offset:         88
        .size:           8
        .value_kind:     by_value
      - .offset:         96
        .size:           8
        .value_kind:     by_value
      - .offset:         104
        .size:           8
        .value_kind:     by_value
      - .offset:         112
        .size:           8
        .value_kind:     by_value
      - .offset:         120
        .size:           8
        .value_kind:     by_value
      - .offset:         128
        .size:           4
        .value_kind:     hidden_block_count_x
      - .offset:         132
        .size:           4
        .value_kind:     hidden_block_count_y
      - .offset:         136
        .size:           4
        .value_kind:     hidden_block_count_z
      - .offset:         140
        .size:           2
        .value_kind:     hidden_group_size_x
      - .offset:         142
        .size:           2
        .value_kind:     hidden_group_size_y
      - .offset:         144
        .size:           2
        .value_kind:     hidden_group_size_z
      - .offset:         146
        .size:           2
        .value_kind:     hidden_remainder_x
      - .offset:         148
        .size:           2
        .value_kind:     hidden_remainder_y
      - .offset:         150
        .size:           2
        .value_kind:     hidden_remainder_z
      - .offset:         168
        .size:           8
        .value_kind:     hidden_global_offset_x
      - .offset:         176
        .size:           8
        .value_kind:     hidden_global_offset_y
      - .offset:         184
        .size:           8
        .value_kind:     hidden_global_offset_z
      - .offset:         192
        .size:           2
        .value_kind:     hidden_grid_dims
    .group_segment_fixed_size: 0
    .kernarg_segment_align: 8
    .kernarg_segment_size: 384
    .language:       OpenCL C
    .language_version:
      - 2
      - 0
    .max_flat_workgroup_size: 1024
    .name:           _ZL16k_get_rows_floatI6__halffEvPKT_PKiPT0_ll15HIP_vector_typeIjLj3EEmmmmmmmmm
    .private_segment_fixed_size: 0
    .sgpr_count:     50
    .sgpr_spill_count: 0
    .symbol:         _ZL16k_get_rows_floatI6__halffEvPKT_PKiPT0_ll15HIP_vector_typeIjLj3EEmmmmmmmmm.kd
    .uniform_work_group_size: 1
    .uses_dynamic_stack: false
    .vgpr_count:     15
    .vgpr_spill_count: 0
    .wavefront_size: 64
  - .agpr_count:     0
    .args:
      - .address_space:  global
        .offset:         0
        .size:           8
        .value_kind:     global_buffer
      - .address_space:  global
        .offset:         8
        .size:           8
        .value_kind:     global_buffer
      - .address_space:  global
        .offset:         16
        .size:           8
        .value_kind:     global_buffer
      - .offset:         24
        .size:           8
        .value_kind:     by_value
      - .offset:         32
        .size:           8
        .value_kind:     by_value
      - .offset:         40
        .size:           12
        .value_kind:     by_value
      - .offset:         56
        .size:           8
        .value_kind:     by_value
      - .offset:         64
        .size:           8
        .value_kind:     by_value
      - .offset:         72
        .size:           8
        .value_kind:     by_value
      - .offset:         80
        .size:           8
        .value_kind:     by_value
      - .offset:         88
        .size:           8
        .value_kind:     by_value
      - .offset:         96
        .size:           8
        .value_kind:     by_value
      - .offset:         104
        .size:           8
        .value_kind:     by_value
      - .offset:         112
        .size:           8
        .value_kind:     by_value
      - .offset:         120
        .size:           8
        .value_kind:     by_value
      - .offset:         128
        .size:           4
        .value_kind:     hidden_block_count_x
      - .offset:         132
        .size:           4
        .value_kind:     hidden_block_count_y
      - .offset:         136
        .size:           4
        .value_kind:     hidden_block_count_z
      - .offset:         140
        .size:           2
        .value_kind:     hidden_group_size_x
      - .offset:         142
        .size:           2
        .value_kind:     hidden_group_size_y
      - .offset:         144
        .size:           2
        .value_kind:     hidden_group_size_z
      - .offset:         146
        .size:           2
        .value_kind:     hidden_remainder_x
      - .offset:         148
        .size:           2
        .value_kind:     hidden_remainder_y
      - .offset:         150
        .size:           2
        .value_kind:     hidden_remainder_z
      - .offset:         168
        .size:           8
        .value_kind:     hidden_global_offset_x
      - .offset:         176
        .size:           8
        .value_kind:     hidden_global_offset_y
      - .offset:         184
        .size:           8
        .value_kind:     hidden_global_offset_z
      - .offset:         192
        .size:           2
        .value_kind:     hidden_grid_dims
    .group_segment_fixed_size: 0
    .kernarg_segment_align: 8
    .kernarg_segment_size: 384
    .language:       OpenCL C
    .language_version:
      - 2
      - 0
    .max_flat_workgroup_size: 1024
    .name:           _ZL16k_get_rows_floatIffEvPKT_PKiPT0_ll15HIP_vector_typeIjLj3EEmmmmmmmmm
    .private_segment_fixed_size: 0
    .sgpr_count:     50
    .sgpr_spill_count: 0
    .symbol:         _ZL16k_get_rows_floatIffEvPKT_PKiPT0_ll15HIP_vector_typeIjLj3EEmmmmmmmmm.kd
    .uniform_work_group_size: 1
    .uses_dynamic_stack: false
    .vgpr_count:     17
    .vgpr_spill_count: 0
    .wavefront_size: 64
  - .agpr_count:     0
    .args:
      - .address_space:  global
        .offset:         0
        .size:           8
        .value_kind:     global_buffer
      - .address_space:  global
        .offset:         8
        .size:           8
        .value_kind:     global_buffer
      - .address_space:  global
        .offset:         16
        .size:           8
        .value_kind:     global_buffer
      - .offset:         24
        .size:           8
        .value_kind:     by_value
      - .offset:         32
        .size:           8
        .value_kind:     by_value
      - .offset:         40
        .size:           12
        .value_kind:     by_value
      - .offset:         56
        .size:           8
        .value_kind:     by_value
      - .offset:         64
        .size:           8
        .value_kind:     by_value
      - .offset:         72
        .size:           8
        .value_kind:     by_value
      - .offset:         80
        .size:           8
        .value_kind:     by_value
      - .offset:         88
        .size:           8
        .value_kind:     by_value
      - .offset:         96
        .size:           8
        .value_kind:     by_value
      - .offset:         104
        .size:           8
        .value_kind:     by_value
      - .offset:         112
        .size:           8
        .value_kind:     by_value
      - .offset:         120
        .size:           8
        .value_kind:     by_value
      - .offset:         128
        .size:           4
        .value_kind:     hidden_block_count_x
      - .offset:         132
        .size:           4
        .value_kind:     hidden_block_count_y
      - .offset:         136
        .size:           4
        .value_kind:     hidden_block_count_z
      - .offset:         140
        .size:           2
        .value_kind:     hidden_group_size_x
      - .offset:         142
        .size:           2
        .value_kind:     hidden_group_size_y
      - .offset:         144
        .size:           2
        .value_kind:     hidden_group_size_z
      - .offset:         146
        .size:           2
        .value_kind:     hidden_remainder_x
      - .offset:         148
        .size:           2
        .value_kind:     hidden_remainder_y
      - .offset:         150
        .size:           2
        .value_kind:     hidden_remainder_z
      - .offset:         168
        .size:           8
        .value_kind:     hidden_global_offset_x
      - .offset:         176
        .size:           8
        .value_kind:     hidden_global_offset_y
      - .offset:         184
        .size:           8
        .value_kind:     hidden_global_offset_z
      - .offset:         192
        .size:           2
        .value_kind:     hidden_grid_dims
    .group_segment_fixed_size: 0
    .kernarg_segment_align: 8
    .kernarg_segment_size: 384
    .language:       OpenCL C
    .language_version:
      - 2
      - 0
    .max_flat_workgroup_size: 1024
    .name:           _ZL16k_get_rows_floatIifEvPKT_PKiPT0_ll15HIP_vector_typeIjLj3EEmmmmmmmmm
    .private_segment_fixed_size: 0
    .sgpr_count:     96
    .sgpr_spill_count: 0
    .symbol:         _ZL16k_get_rows_floatIifEvPKT_PKiPT0_ll15HIP_vector_typeIjLj3EEmmmmmmmmm.kd
    .uniform_work_group_size: 1
    .uses_dynamic_stack: false
    .vgpr_count:     24
    .vgpr_spill_count: 0
    .wavefront_size: 64
  - .agpr_count:     0
    .args:
      - .address_space:  global
        .offset:         0
        .size:           8
        .value_kind:     global_buffer
      - .address_space:  global
        .offset:         8
        .size:           8
        .value_kind:     global_buffer
      - .address_space:  global
        .offset:         16
        .size:           8
        .value_kind:     global_buffer
      - .offset:         24
        .size:           8
        .value_kind:     by_value
      - .offset:         32
        .size:           8
        .value_kind:     by_value
      - .offset:         40
        .size:           12
        .value_kind:     by_value
      - .offset:         56
        .size:           8
        .value_kind:     by_value
      - .offset:         64
        .size:           8
        .value_kind:     by_value
      - .offset:         72
        .size:           8
        .value_kind:     by_value
      - .offset:         80
        .size:           8
        .value_kind:     by_value
      - .offset:         88
        .size:           8
        .value_kind:     by_value
      - .offset:         96
        .size:           8
        .value_kind:     by_value
      - .offset:         104
        .size:           8
        .value_kind:     by_value
      - .offset:         112
        .size:           8
        .value_kind:     by_value
      - .offset:         120
        .size:           8
        .value_kind:     by_value
      - .offset:         128
        .size:           4
        .value_kind:     hidden_block_count_x
      - .offset:         132
        .size:           4
        .value_kind:     hidden_block_count_y
      - .offset:         136
        .size:           4
        .value_kind:     hidden_block_count_z
      - .offset:         140
        .size:           2
        .value_kind:     hidden_group_size_x
      - .offset:         142
        .size:           2
        .value_kind:     hidden_group_size_y
      - .offset:         144
        .size:           2
        .value_kind:     hidden_group_size_z
      - .offset:         146
        .size:           2
        .value_kind:     hidden_remainder_x
      - .offset:         148
        .size:           2
        .value_kind:     hidden_remainder_y
      - .offset:         150
        .size:           2
        .value_kind:     hidden_remainder_z
      - .offset:         168
        .size:           8
        .value_kind:     hidden_global_offset_x
      - .offset:         176
        .size:           8
        .value_kind:     hidden_global_offset_y
      - .offset:         184
        .size:           8
        .value_kind:     hidden_global_offset_z
      - .offset:         192
        .size:           2
        .value_kind:     hidden_grid_dims
    .group_segment_fixed_size: 0
    .kernarg_segment_align: 8
    .kernarg_segment_size: 384
    .language:       OpenCL C
    .language_version:
      - 2
      - 0
    .max_flat_workgroup_size: 1024
    .name:           _ZL16k_get_rows_floatI14__hip_bfloat16fEvPKT_PKiPT0_ll15HIP_vector_typeIjLj3EEmmmmmmmmm
    .private_segment_fixed_size: 0
    .sgpr_count:     50
    .sgpr_spill_count: 0
    .symbol:         _ZL16k_get_rows_floatI14__hip_bfloat16fEvPKT_PKiPT0_ll15HIP_vector_typeIjLj3EEmmmmmmmmm.kd
    .uniform_work_group_size: 1
    .uses_dynamic_stack: false
    .vgpr_count:     15
    .vgpr_spill_count: 0
    .wavefront_size: 64
  - .agpr_count:     0
    .args:
      - .actual_access:  read_only
        .address_space:  global
        .offset:         0
        .size:           8
        .value_kind:     global_buffer
      - .actual_access:  read_only
        .address_space:  global
        .offset:         8
        .size:           8
        .value_kind:     global_buffer
      - .actual_access:  write_only
        .address_space:  global
        .offset:         16
        .size:           8
        .value_kind:     global_buffer
      - .offset:         24
        .size:           8
        .value_kind:     by_value
      - .offset:         32
        .size:           8
        .value_kind:     by_value
      - .offset:         40
        .size:           12
        .value_kind:     by_value
      - .offset:         56
        .size:           8
        .value_kind:     by_value
      - .offset:         64
        .size:           8
        .value_kind:     by_value
      - .offset:         72
        .size:           8
        .value_kind:     by_value
      - .offset:         80
        .size:           8
        .value_kind:     by_value
      - .offset:         88
        .size:           8
        .value_kind:     by_value
      - .offset:         96
        .size:           8
        .value_kind:     by_value
      - .offset:         104
        .size:           8
        .value_kind:     by_value
      - .offset:         112
        .size:           8
        .value_kind:     by_value
      - .offset:         120
        .size:           8
        .value_kind:     by_value
      - .offset:         128
        .size:           4
        .value_kind:     hidden_block_count_x
      - .offset:         132
        .size:           4
        .value_kind:     hidden_block_count_y
      - .offset:         136
        .size:           4
        .value_kind:     hidden_block_count_z
      - .offset:         140
        .size:           2
        .value_kind:     hidden_group_size_x
      - .offset:         142
        .size:           2
        .value_kind:     hidden_group_size_y
      - .offset:         144
        .size:           2
        .value_kind:     hidden_group_size_z
      - .offset:         146
        .size:           2
        .value_kind:     hidden_remainder_x
      - .offset:         148
        .size:           2
        .value_kind:     hidden_remainder_y
      - .offset:         150
        .size:           2
        .value_kind:     hidden_remainder_z
      - .offset:         168
        .size:           8
        .value_kind:     hidden_global_offset_x
      - .offset:         176
        .size:           8
        .value_kind:     hidden_global_offset_y
      - .offset:         184
        .size:           8
        .value_kind:     hidden_global_offset_z
      - .offset:         192
        .size:           2
        .value_kind:     hidden_grid_dims
    .group_segment_fixed_size: 0
    .kernarg_segment_align: 8
    .kernarg_segment_size: 384
    .language:       OpenCL C
    .language_version:
      - 2
      - 0
    .max_flat_workgroup_size: 1024
    .name:           _ZL10k_get_rowsILi128ELi1EXadL_ZL15dequantize_q1_0PKvliR15HIP_vector_typeIfLj2EEEEfEvS1_PKiPT2_llS2_IjLj3EEmmmmmmmmm
    .private_segment_fixed_size: 0
    .sgpr_count:     56
    .sgpr_spill_count: 0
    .symbol:         _ZL10k_get_rowsILi128ELi1EXadL_ZL15dequantize_q1_0PKvliR15HIP_vector_typeIfLj2EEEEfEvS1_PKiPT2_llS2_IjLj3EEmmmmmmmmm.kd
    .uniform_work_group_size: 1
    .uses_dynamic_stack: false
    .vgpr_count:     24
    .vgpr_spill_count: 0
    .wavefront_size: 64
  - .agpr_count:     0
    .args:
      - .actual_access:  read_only
        .address_space:  global
        .offset:         0
        .size:           8
        .value_kind:     global_buffer
      - .actual_access:  read_only
        .address_space:  global
        .offset:         8
        .size:           8
        .value_kind:     global_buffer
      - .actual_access:  write_only
        .address_space:  global
        .offset:         16
        .size:           8
        .value_kind:     global_buffer
      - .offset:         24
        .size:           8
        .value_kind:     by_value
      - .offset:         32
        .size:           8
        .value_kind:     by_value
      - .offset:         40
        .size:           12
        .value_kind:     by_value
      - .offset:         56
        .size:           8
        .value_kind:     by_value
      - .offset:         64
        .size:           8
        .value_kind:     by_value
      - .offset:         72
        .size:           8
        .value_kind:     by_value
      - .offset:         80
        .size:           8
        .value_kind:     by_value
      - .offset:         88
        .size:           8
        .value_kind:     by_value
      - .offset:         96
        .size:           8
        .value_kind:     by_value
      - .offset:         104
        .size:           8
        .value_kind:     by_value
      - .offset:         112
        .size:           8
        .value_kind:     by_value
      - .offset:         120
        .size:           8
        .value_kind:     by_value
      - .offset:         128
        .size:           4
        .value_kind:     hidden_block_count_x
      - .offset:         132
        .size:           4
        .value_kind:     hidden_block_count_y
      - .offset:         136
        .size:           4
        .value_kind:     hidden_block_count_z
      - .offset:         140
        .size:           2
        .value_kind:     hidden_group_size_x
      - .offset:         142
        .size:           2
        .value_kind:     hidden_group_size_y
      - .offset:         144
        .size:           2
        .value_kind:     hidden_group_size_z
      - .offset:         146
        .size:           2
        .value_kind:     hidden_remainder_x
      - .offset:         148
        .size:           2
        .value_kind:     hidden_remainder_y
      - .offset:         150
        .size:           2
        .value_kind:     hidden_remainder_z
      - .offset:         168
        .size:           8
        .value_kind:     hidden_global_offset_x
      - .offset:         176
        .size:           8
        .value_kind:     hidden_global_offset_y
      - .offset:         184
        .size:           8
        .value_kind:     hidden_global_offset_z
      - .offset:         192
        .size:           2
        .value_kind:     hidden_grid_dims
    .group_segment_fixed_size: 0
    .kernarg_segment_align: 8
    .kernarg_segment_size: 384
    .language:       OpenCL C
    .language_version:
      - 2
      - 0
    .max_flat_workgroup_size: 1024
    .name:           _ZL10k_get_rowsILi32ELi2EXadL_ZL15dequantize_q4_0PKvliR15HIP_vector_typeIfLj2EEEEfEvS1_PKiPT2_llS2_IjLj3EEmmmmmmmmm
    .private_segment_fixed_size: 0
    .sgpr_count:     56
    .sgpr_spill_count: 0
    .symbol:         _ZL10k_get_rowsILi32ELi2EXadL_ZL15dequantize_q4_0PKvliR15HIP_vector_typeIfLj2EEEEfEvS1_PKiPT2_llS2_IjLj3EEmmmmmmmmm.kd
    .uniform_work_group_size: 1
    .uses_dynamic_stack: false
    .vgpr_count:     18
    .vgpr_spill_count: 0
    .wavefront_size: 64
  - .agpr_count:     0
    .args:
      - .actual_access:  read_only
        .address_space:  global
        .offset:         0
        .size:           8
        .value_kind:     global_buffer
      - .actual_access:  read_only
        .address_space:  global
        .offset:         8
        .size:           8
        .value_kind:     global_buffer
      - .actual_access:  write_only
        .address_space:  global
        .offset:         16
        .size:           8
        .value_kind:     global_buffer
      - .offset:         24
        .size:           8
        .value_kind:     by_value
      - .offset:         32
        .size:           8
        .value_kind:     by_value
      - .offset:         40
        .size:           12
        .value_kind:     by_value
      - .offset:         56
        .size:           8
        .value_kind:     by_value
      - .offset:         64
        .size:           8
        .value_kind:     by_value
      - .offset:         72
        .size:           8
        .value_kind:     by_value
      - .offset:         80
        .size:           8
        .value_kind:     by_value
      - .offset:         88
        .size:           8
        .value_kind:     by_value
      - .offset:         96
        .size:           8
        .value_kind:     by_value
      - .offset:         104
        .size:           8
        .value_kind:     by_value
      - .offset:         112
        .size:           8
        .value_kind:     by_value
      - .offset:         120
        .size:           8
        .value_kind:     by_value
      - .offset:         128
        .size:           4
        .value_kind:     hidden_block_count_x
      - .offset:         132
        .size:           4
        .value_kind:     hidden_block_count_y
      - .offset:         136
        .size:           4
        .value_kind:     hidden_block_count_z
      - .offset:         140
        .size:           2
        .value_kind:     hidden_group_size_x
      - .offset:         142
        .size:           2
        .value_kind:     hidden_group_size_y
      - .offset:         144
        .size:           2
        .value_kind:     hidden_group_size_z
      - .offset:         146
        .size:           2
        .value_kind:     hidden_remainder_x
      - .offset:         148
        .size:           2
        .value_kind:     hidden_remainder_y
      - .offset:         150
        .size:           2
        .value_kind:     hidden_remainder_z
      - .offset:         168
        .size:           8
        .value_kind:     hidden_global_offset_x
      - .offset:         176
        .size:           8
        .value_kind:     hidden_global_offset_y
      - .offset:         184
        .size:           8
        .value_kind:     hidden_global_offset_z
      - .offset:         192
        .size:           2
        .value_kind:     hidden_grid_dims
    .group_segment_fixed_size: 0
    .kernarg_segment_align: 8
    .kernarg_segment_size: 384
    .language:       OpenCL C
    .language_version:
      - 2
      - 0
    .max_flat_workgroup_size: 1024
    .name:           _ZL10k_get_rowsILi32ELi2EXadL_ZL15dequantize_q4_1PKvliR15HIP_vector_typeIfLj2EEEEfEvS1_PKiPT2_llS2_IjLj3EEmmmmmmmmm
    .private_segment_fixed_size: 0
    .sgpr_count:     56
    .sgpr_spill_count: 0
    .symbol:         _ZL10k_get_rowsILi32ELi2EXadL_ZL15dequantize_q4_1PKvliR15HIP_vector_typeIfLj2EEEEfEvS1_PKiPT2_llS2_IjLj3EEmmmmmmmmm.kd
    .uniform_work_group_size: 1
    .uses_dynamic_stack: false
    .vgpr_count:     18
    .vgpr_spill_count: 0
    .wavefront_size: 64
  - .agpr_count:     0
    .args:
      - .actual_access:  read_only
        .address_space:  global
        .offset:         0
        .size:           8
        .value_kind:     global_buffer
      - .actual_access:  read_only
        .address_space:  global
        .offset:         8
        .size:           8
        .value_kind:     global_buffer
      - .actual_access:  write_only
        .address_space:  global
        .offset:         16
        .size:           8
        .value_kind:     global_buffer
      - .offset:         24
        .size:           8
        .value_kind:     by_value
      - .offset:         32
        .size:           8
        .value_kind:     by_value
      - .offset:         40
        .size:           12
        .value_kind:     by_value
      - .offset:         56
        .size:           8
        .value_kind:     by_value
      - .offset:         64
        .size:           8
        .value_kind:     by_value
      - .offset:         72
        .size:           8
        .value_kind:     by_value
      - .offset:         80
        .size:           8
        .value_kind:     by_value
      - .offset:         88
        .size:           8
        .value_kind:     by_value
      - .offset:         96
        .size:           8
        .value_kind:     by_value
      - .offset:         104
        .size:           8
        .value_kind:     by_value
      - .offset:         112
        .size:           8
        .value_kind:     by_value
      - .offset:         120
        .size:           8
        .value_kind:     by_value
      - .offset:         128
        .size:           4
        .value_kind:     hidden_block_count_x
      - .offset:         132
        .size:           4
        .value_kind:     hidden_block_count_y
      - .offset:         136
        .size:           4
        .value_kind:     hidden_block_count_z
      - .offset:         140
        .size:           2
        .value_kind:     hidden_group_size_x
      - .offset:         142
        .size:           2
        .value_kind:     hidden_group_size_y
      - .offset:         144
        .size:           2
        .value_kind:     hidden_group_size_z
      - .offset:         146
        .size:           2
        .value_kind:     hidden_remainder_x
      - .offset:         148
        .size:           2
        .value_kind:     hidden_remainder_y
      - .offset:         150
        .size:           2
        .value_kind:     hidden_remainder_z
      - .offset:         168
        .size:           8
        .value_kind:     hidden_global_offset_x
      - .offset:         176
        .size:           8
        .value_kind:     hidden_global_offset_y
      - .offset:         184
        .size:           8
        .value_kind:     hidden_global_offset_z
      - .offset:         192
        .size:           2
        .value_kind:     hidden_grid_dims
    .group_segment_fixed_size: 0
    .kernarg_segment_align: 8
    .kernarg_segment_size: 384
    .language:       OpenCL C
    .language_version:
      - 2
      - 0
    .max_flat_workgroup_size: 1024
    .name:           _ZL10k_get_rowsILi32ELi2EXadL_ZL15dequantize_q5_0PKvliR15HIP_vector_typeIfLj2EEEEfEvS1_PKiPT2_llS2_IjLj3EEmmmmmmmmm
    .private_segment_fixed_size: 0
    .sgpr_count:     56
    .sgpr_spill_count: 0
    .symbol:         _ZL10k_get_rowsILi32ELi2EXadL_ZL15dequantize_q5_0PKvliR15HIP_vector_typeIfLj2EEEEfEvS1_PKiPT2_llS2_IjLj3EEmmmmmmmmm.kd
    .uniform_work_group_size: 1
    .uses_dynamic_stack: false
    .vgpr_count:     19
    .vgpr_spill_count: 0
    .wavefront_size: 64
  - .agpr_count:     0
    .args:
      - .actual_access:  read_only
        .address_space:  global
        .offset:         0
        .size:           8
        .value_kind:     global_buffer
      - .actual_access:  read_only
        .address_space:  global
        .offset:         8
        .size:           8
        .value_kind:     global_buffer
      - .actual_access:  write_only
        .address_space:  global
        .offset:         16
        .size:           8
        .value_kind:     global_buffer
      - .offset:         24
        .size:           8
        .value_kind:     by_value
      - .offset:         32
        .size:           8
        .value_kind:     by_value
      - .offset:         40
        .size:           12
        .value_kind:     by_value
      - .offset:         56
        .size:           8
        .value_kind:     by_value
      - .offset:         64
        .size:           8
        .value_kind:     by_value
      - .offset:         72
        .size:           8
        .value_kind:     by_value
      - .offset:         80
        .size:           8
        .value_kind:     by_value
      - .offset:         88
        .size:           8
        .value_kind:     by_value
      - .offset:         96
        .size:           8
        .value_kind:     by_value
      - .offset:         104
        .size:           8
        .value_kind:     by_value
      - .offset:         112
        .size:           8
        .value_kind:     by_value
      - .offset:         120
        .size:           8
        .value_kind:     by_value
      - .offset:         128
        .size:           4
        .value_kind:     hidden_block_count_x
      - .offset:         132
        .size:           4
        .value_kind:     hidden_block_count_y
      - .offset:         136
        .size:           4
        .value_kind:     hidden_block_count_z
      - .offset:         140
        .size:           2
        .value_kind:     hidden_group_size_x
      - .offset:         142
        .size:           2
        .value_kind:     hidden_group_size_y
      - .offset:         144
        .size:           2
        .value_kind:     hidden_group_size_z
      - .offset:         146
        .size:           2
        .value_kind:     hidden_remainder_x
      - .offset:         148
        .size:           2
        .value_kind:     hidden_remainder_y
      - .offset:         150
        .size:           2
        .value_kind:     hidden_remainder_z
      - .offset:         168
        .size:           8
        .value_kind:     hidden_global_offset_x
      - .offset:         176
        .size:           8
        .value_kind:     hidden_global_offset_y
      - .offset:         184
        .size:           8
        .value_kind:     hidden_global_offset_z
      - .offset:         192
        .size:           2
        .value_kind:     hidden_grid_dims
    .group_segment_fixed_size: 0
    .kernarg_segment_align: 8
    .kernarg_segment_size: 384
    .language:       OpenCL C
    .language_version:
      - 2
      - 0
    .max_flat_workgroup_size: 1024
    .name:           _ZL10k_get_rowsILi32ELi2EXadL_ZL15dequantize_q5_1PKvliR15HIP_vector_typeIfLj2EEEEfEvS1_PKiPT2_llS2_IjLj3EEmmmmmmmmm
    .private_segment_fixed_size: 0
    .sgpr_count:     56
    .sgpr_spill_count: 0
    .symbol:         _ZL10k_get_rowsILi32ELi2EXadL_ZL15dequantize_q5_1PKvliR15HIP_vector_typeIfLj2EEEEfEvS1_PKiPT2_llS2_IjLj3EEmmmmmmmmm.kd
    .uniform_work_group_size: 1
    .uses_dynamic_stack: false
    .vgpr_count:     18
    .vgpr_spill_count: 0
    .wavefront_size: 64
  - .agpr_count:     0
    .args:
      - .actual_access:  read_only
        .address_space:  global
        .offset:         0
        .size:           8
        .value_kind:     global_buffer
      - .actual_access:  read_only
        .address_space:  global
        .offset:         8
        .size:           8
        .value_kind:     global_buffer
      - .actual_access:  write_only
        .address_space:  global
        .offset:         16
        .size:           8
        .value_kind:     global_buffer
      - .offset:         24
        .size:           8
        .value_kind:     by_value
      - .offset:         32
        .size:           8
        .value_kind:     by_value
      - .offset:         40
        .size:           12
        .value_kind:     by_value
      - .offset:         56
        .size:           8
        .value_kind:     by_value
      - .offset:         64
        .size:           8
        .value_kind:     by_value
      - .offset:         72
        .size:           8
        .value_kind:     by_value
      - .offset:         80
        .size:           8
        .value_kind:     by_value
      - .offset:         88
        .size:           8
        .value_kind:     by_value
      - .offset:         96
        .size:           8
        .value_kind:     by_value
      - .offset:         104
        .size:           8
        .value_kind:     by_value
      - .offset:         112
        .size:           8
        .value_kind:     by_value
      - .offset:         120
        .size:           8
        .value_kind:     by_value
      - .offset:         128
        .size:           4
        .value_kind:     hidden_block_count_x
      - .offset:         132
        .size:           4
        .value_kind:     hidden_block_count_y
      - .offset:         136
        .size:           4
        .value_kind:     hidden_block_count_z
      - .offset:         140
        .size:           2
        .value_kind:     hidden_group_size_x
      - .offset:         142
        .size:           2
        .value_kind:     hidden_group_size_y
      - .offset:         144
        .size:           2
        .value_kind:     hidden_group_size_z
      - .offset:         146
        .size:           2
        .value_kind:     hidden_remainder_x
      - .offset:         148
        .size:           2
        .value_kind:     hidden_remainder_y
      - .offset:         150
        .size:           2
        .value_kind:     hidden_remainder_z
      - .offset:         168
        .size:           8
        .value_kind:     hidden_global_offset_x
      - .offset:         176
        .size:           8
        .value_kind:     hidden_global_offset_y
      - .offset:         184
        .size:           8
        .value_kind:     hidden_global_offset_z
      - .offset:         192
        .size:           2
        .value_kind:     hidden_grid_dims
    .group_segment_fixed_size: 0
    .kernarg_segment_align: 8
    .kernarg_segment_size: 384
    .language:       OpenCL C
    .language_version:
      - 2
      - 0
    .max_flat_workgroup_size: 1024
    .name:           _ZL10k_get_rowsILi32ELi1EXadL_ZL15dequantize_q8_0PKvliR15HIP_vector_typeIfLj2EEEEfEvS1_PKiPT2_llS2_IjLj3EEmmmmmmmmm
    .private_segment_fixed_size: 0
    .sgpr_count:     56
    .sgpr_spill_count: 0
    .symbol:         _ZL10k_get_rowsILi32ELi1EXadL_ZL15dequantize_q8_0PKvliR15HIP_vector_typeIfLj2EEEEfEvS1_PKiPT2_llS2_IjLj3EEmmmmmmmmm.kd
    .uniform_work_group_size: 1
    .uses_dynamic_stack: false
    .vgpr_count:     21
    .vgpr_spill_count: 0
    .wavefront_size: 64
  - .agpr_count:     0
    .args:
      - .address_space:  global
        .offset:         0
        .size:           8
        .value_kind:     global_buffer
      - .address_space:  global
        .offset:         8
        .size:           8
        .value_kind:     global_buffer
      - .address_space:  global
        .offset:         16
        .size:           8
        .value_kind:     global_buffer
      - .offset:         24
        .size:           8
        .value_kind:     by_value
      - .offset:         32
        .size:           8
        .value_kind:     by_value
      - .offset:         40
        .size:           12
        .value_kind:     by_value
      - .offset:         56
        .size:           8
        .value_kind:     by_value
      - .offset:         64
        .size:           8
        .value_kind:     by_value
      - .offset:         72
        .size:           8
        .value_kind:     by_value
      - .offset:         80
        .size:           8
        .value_kind:     by_value
      - .offset:         88
        .size:           8
        .value_kind:     by_value
      - .offset:         96
        .size:           8
        .value_kind:     by_value
      - .offset:         104
        .size:           8
        .value_kind:     by_value
      - .offset:         112
        .size:           8
        .value_kind:     by_value
      - .offset:         120
        .size:           8
        .value_kind:     by_value
      - .offset:         128
        .size:           4
        .value_kind:     hidden_block_count_x
      - .offset:         132
        .size:           4
        .value_kind:     hidden_block_count_y
      - .offset:         136
        .size:           4
        .value_kind:     hidden_block_count_z
      - .offset:         140
        .size:           2
        .value_kind:     hidden_group_size_x
      - .offset:         142
        .size:           2
        .value_kind:     hidden_group_size_y
      - .offset:         144
        .size:           2
        .value_kind:     hidden_group_size_z
      - .offset:         146
        .size:           2
        .value_kind:     hidden_remainder_x
      - .offset:         148
        .size:           2
        .value_kind:     hidden_remainder_y
      - .offset:         150
        .size:           2
        .value_kind:     hidden_remainder_z
      - .offset:         168
        .size:           8
        .value_kind:     hidden_global_offset_x
      - .offset:         176
        .size:           8
        .value_kind:     hidden_global_offset_y
      - .offset:         184
        .size:           8
        .value_kind:     hidden_global_offset_z
      - .offset:         192
        .size:           2
        .value_kind:     hidden_grid_dims
    .group_segment_fixed_size: 0
    .kernarg_segment_align: 8
    .kernarg_segment_size: 384
    .language:       OpenCL C
    .language_version:
      - 2
      - 0
    .max_flat_workgroup_size: 1024
    .name:           _ZL16k_get_rows_floatI6__halfiEvPKT_PKiPT0_ll15HIP_vector_typeIjLj3EEmmmmmmmmm
    .private_segment_fixed_size: 0
    .sgpr_count:     50
    .sgpr_spill_count: 0
    .symbol:         _ZL16k_get_rows_floatI6__halfiEvPKT_PKiPT0_ll15HIP_vector_typeIjLj3EEmmmmmmmmm.kd
    .uniform_work_group_size: 1
    .uses_dynamic_stack: false
    .vgpr_count:     18
    .vgpr_spill_count: 0
    .wavefront_size: 64
  - .agpr_count:     0
    .args:
      - .address_space:  global
        .offset:         0
        .size:           8
        .value_kind:     global_buffer
      - .address_space:  global
        .offset:         8
        .size:           8
        .value_kind:     global_buffer
      - .address_space:  global
        .offset:         16
        .size:           8
        .value_kind:     global_buffer
      - .offset:         24
        .size:           8
        .value_kind:     by_value
      - .offset:         32
        .size:           8
        .value_kind:     by_value
      - .offset:         40
        .size:           12
        .value_kind:     by_value
      - .offset:         56
        .size:           8
        .value_kind:     by_value
      - .offset:         64
        .size:           8
        .value_kind:     by_value
      - .offset:         72
        .size:           8
        .value_kind:     by_value
      - .offset:         80
        .size:           8
        .value_kind:     by_value
      - .offset:         88
        .size:           8
        .value_kind:     by_value
      - .offset:         96
        .size:           8
        .value_kind:     by_value
      - .offset:         104
        .size:           8
        .value_kind:     by_value
      - .offset:         112
        .size:           8
        .value_kind:     by_value
      - .offset:         120
        .size:           8
        .value_kind:     by_value
      - .offset:         128
        .size:           4
        .value_kind:     hidden_block_count_x
      - .offset:         132
        .size:           4
        .value_kind:     hidden_block_count_y
      - .offset:         136
        .size:           4
        .value_kind:     hidden_block_count_z
      - .offset:         140
        .size:           2
        .value_kind:     hidden_group_size_x
      - .offset:         142
        .size:           2
        .value_kind:     hidden_group_size_y
      - .offset:         144
        .size:           2
        .value_kind:     hidden_group_size_z
      - .offset:         146
        .size:           2
        .value_kind:     hidden_remainder_x
      - .offset:         148
        .size:           2
        .value_kind:     hidden_remainder_y
      - .offset:         150
        .size:           2
        .value_kind:     hidden_remainder_z
      - .offset:         168
        .size:           8
        .value_kind:     hidden_global_offset_x
      - .offset:         176
        .size:           8
        .value_kind:     hidden_global_offset_y
      - .offset:         184
        .size:           8
        .value_kind:     hidden_global_offset_z
      - .offset:         192
        .size:           2
        .value_kind:     hidden_grid_dims
    .group_segment_fixed_size: 0
    .kernarg_segment_align: 8
    .kernarg_segment_size: 384
    .language:       OpenCL C
    .language_version:
      - 2
      - 0
    .max_flat_workgroup_size: 1024
    .name:           _ZL16k_get_rows_floatIfiEvPKT_PKiPT0_ll15HIP_vector_typeIjLj3EEmmmmmmmmm
    .private_segment_fixed_size: 0
    .sgpr_count:     50
    .sgpr_spill_count: 0
    .symbol:         _ZL16k_get_rows_floatIfiEvPKT_PKiPT0_ll15HIP_vector_typeIjLj3EEmmmmmmmmm.kd
    .uniform_work_group_size: 1
    .uses_dynamic_stack: false
    .vgpr_count:     18
    .vgpr_spill_count: 0
    .wavefront_size: 64
  - .agpr_count:     0
    .args:
      - .address_space:  global
        .offset:         0
        .size:           8
        .value_kind:     global_buffer
      - .address_space:  global
        .offset:         8
        .size:           8
        .value_kind:     global_buffer
      - .address_space:  global
        .offset:         16
        .size:           8
        .value_kind:     global_buffer
      - .offset:         24
        .size:           8
        .value_kind:     by_value
      - .offset:         32
        .size:           8
        .value_kind:     by_value
      - .offset:         40
        .size:           12
        .value_kind:     by_value
      - .offset:         56
        .size:           8
        .value_kind:     by_value
      - .offset:         64
        .size:           8
        .value_kind:     by_value
      - .offset:         72
        .size:           8
        .value_kind:     by_value
      - .offset:         80
        .size:           8
        .value_kind:     by_value
      - .offset:         88
        .size:           8
        .value_kind:     by_value
      - .offset:         96
        .size:           8
        .value_kind:     by_value
      - .offset:         104
        .size:           8
        .value_kind:     by_value
      - .offset:         112
        .size:           8
        .value_kind:     by_value
      - .offset:         120
        .size:           8
        .value_kind:     by_value
      - .offset:         128
        .size:           4
        .value_kind:     hidden_block_count_x
      - .offset:         132
        .size:           4
        .value_kind:     hidden_block_count_y
      - .offset:         136
        .size:           4
        .value_kind:     hidden_block_count_z
      - .offset:         140
        .size:           2
        .value_kind:     hidden_group_size_x
      - .offset:         142
        .size:           2
        .value_kind:     hidden_group_size_y
      - .offset:         144
        .size:           2
        .value_kind:     hidden_group_size_z
      - .offset:         146
        .size:           2
        .value_kind:     hidden_remainder_x
      - .offset:         148
        .size:           2
        .value_kind:     hidden_remainder_y
      - .offset:         150
        .size:           2
        .value_kind:     hidden_remainder_z
      - .offset:         168
        .size:           8
        .value_kind:     hidden_global_offset_x
      - .offset:         176
        .size:           8
        .value_kind:     hidden_global_offset_y
      - .offset:         184
        .size:           8
        .value_kind:     hidden_global_offset_z
      - .offset:         192
        .size:           2
        .value_kind:     hidden_grid_dims
    .group_segment_fixed_size: 0
    .kernarg_segment_align: 8
    .kernarg_segment_size: 384
    .language:       OpenCL C
    .language_version:
      - 2
      - 0
    .max_flat_workgroup_size: 1024
    .name:           _ZL16k_get_rows_floatIiiEvPKT_PKiPT0_ll15HIP_vector_typeIjLj3EEmmmmmmmmm
    .private_segment_fixed_size: 0
    .sgpr_count:     50
    .sgpr_spill_count: 0
    .symbol:         _ZL16k_get_rows_floatIiiEvPKT_PKiPT0_ll15HIP_vector_typeIjLj3EEmmmmmmmmm.kd
    .uniform_work_group_size: 1
    .uses_dynamic_stack: false
    .vgpr_count:     18
    .vgpr_spill_count: 0
    .wavefront_size: 64
  - .agpr_count:     0
    .args:
      - .address_space:  global
        .offset:         0
        .size:           8
        .value_kind:     global_buffer
      - .address_space:  global
        .offset:         8
        .size:           8
        .value_kind:     global_buffer
      - .address_space:  global
        .offset:         16
        .size:           8
        .value_kind:     global_buffer
      - .offset:         24
        .size:           8
        .value_kind:     by_value
      - .offset:         32
        .size:           8
        .value_kind:     by_value
      - .offset:         40
        .size:           12
        .value_kind:     by_value
      - .offset:         56
        .size:           8
        .value_kind:     by_value
      - .offset:         64
        .size:           8
        .value_kind:     by_value
      - .offset:         72
        .size:           8
        .value_kind:     by_value
      - .offset:         80
        .size:           8
        .value_kind:     by_value
      - .offset:         88
        .size:           8
        .value_kind:     by_value
      - .offset:         96
        .size:           8
        .value_kind:     by_value
      - .offset:         104
        .size:           8
        .value_kind:     by_value
      - .offset:         112
        .size:           8
        .value_kind:     by_value
      - .offset:         120
        .size:           8
        .value_kind:     by_value
      - .offset:         128
        .size:           4
        .value_kind:     hidden_block_count_x
      - .offset:         132
        .size:           4
        .value_kind:     hidden_block_count_y
      - .offset:         136
        .size:           4
        .value_kind:     hidden_block_count_z
      - .offset:         140
        .size:           2
        .value_kind:     hidden_group_size_x
      - .offset:         142
        .size:           2
        .value_kind:     hidden_group_size_y
      - .offset:         144
        .size:           2
        .value_kind:     hidden_group_size_z
      - .offset:         146
        .size:           2
        .value_kind:     hidden_remainder_x
      - .offset:         148
        .size:           2
        .value_kind:     hidden_remainder_y
      - .offset:         150
        .size:           2
        .value_kind:     hidden_remainder_z
      - .offset:         168
        .size:           8
        .value_kind:     hidden_global_offset_x
      - .offset:         176
        .size:           8
        .value_kind:     hidden_global_offset_y
      - .offset:         184
        .size:           8
        .value_kind:     hidden_global_offset_z
      - .offset:         192
        .size:           2
        .value_kind:     hidden_grid_dims
    .group_segment_fixed_size: 0
    .kernarg_segment_align: 8
    .kernarg_segment_size: 384
    .language:       OpenCL C
    .language_version:
      - 2
      - 0
    .max_flat_workgroup_size: 1024
    .name:           _ZL16k_get_rows_floatI14__hip_bfloat16iEvPKT_PKiPT0_ll15HIP_vector_typeIjLj3EEmmmmmmmmm
    .private_segment_fixed_size: 0
    .sgpr_count:     50
    .sgpr_spill_count: 0
    .symbol:         _ZL16k_get_rows_floatI14__hip_bfloat16iEvPKT_PKiPT0_ll15HIP_vector_typeIjLj3EEmmmmmmmmm.kd
    .uniform_work_group_size: 1
    .uses_dynamic_stack: false
    .vgpr_count:     18
    .vgpr_spill_count: 0
    .wavefront_size: 64
  - .agpr_count:     0
    .args:
      - .actual_access:  read_only
        .address_space:  global
        .offset:         0
        .size:           8
        .value_kind:     global_buffer
      - .actual_access:  read_only
        .address_space:  global
        .offset:         8
        .size:           8
        .value_kind:     global_buffer
      - .actual_access:  write_only
        .address_space:  global
        .offset:         16
        .size:           8
        .value_kind:     global_buffer
      - .offset:         24
        .size:           8
        .value_kind:     by_value
      - .offset:         32
        .size:           8
        .value_kind:     by_value
      - .offset:         40
        .size:           12
        .value_kind:     by_value
      - .offset:         56
        .size:           8
        .value_kind:     by_value
      - .offset:         64
        .size:           8
        .value_kind:     by_value
      - .offset:         72
        .size:           8
        .value_kind:     by_value
      - .offset:         80
        .size:           8
        .value_kind:     by_value
      - .offset:         88
        .size:           8
        .value_kind:     by_value
      - .offset:         96
        .size:           8
        .value_kind:     by_value
      - .offset:         104
        .size:           8
        .value_kind:     by_value
      - .offset:         112
        .size:           8
        .value_kind:     by_value
      - .offset:         120
        .size:           8
        .value_kind:     by_value
      - .offset:         128
        .size:           4
        .value_kind:     hidden_block_count_x
      - .offset:         132
        .size:           4
        .value_kind:     hidden_block_count_y
      - .offset:         136
        .size:           4
        .value_kind:     hidden_block_count_z
      - .offset:         140
        .size:           2
        .value_kind:     hidden_group_size_x
      - .offset:         142
        .size:           2
        .value_kind:     hidden_group_size_y
      - .offset:         144
        .size:           2
        .value_kind:     hidden_group_size_z
      - .offset:         146
        .size:           2
        .value_kind:     hidden_remainder_x
      - .offset:         148
        .size:           2
        .value_kind:     hidden_remainder_y
      - .offset:         150
        .size:           2
        .value_kind:     hidden_remainder_z
      - .offset:         168
        .size:           8
        .value_kind:     hidden_global_offset_x
      - .offset:         176
        .size:           8
        .value_kind:     hidden_global_offset_y
      - .offset:         184
        .size:           8
        .value_kind:     hidden_global_offset_z
      - .offset:         192
        .size:           2
        .value_kind:     hidden_grid_dims
    .group_segment_fixed_size: 0
    .kernarg_segment_align: 8
    .kernarg_segment_size: 384
    .language:       OpenCL C
    .language_version:
      - 2
      - 0
    .max_flat_workgroup_size: 1024
    .name:           _ZL10k_get_rowsILi128ELi1EXadL_ZL15dequantize_q1_0PKvliR15HIP_vector_typeIfLj2EEEEiEvS1_PKiPT2_llS2_IjLj3EEmmmmmmmmm
    .private_segment_fixed_size: 0
    .sgpr_count:     56
    .sgpr_spill_count: 0
    .symbol:         _ZL10k_get_rowsILi128ELi1EXadL_ZL15dequantize_q1_0PKvliR15HIP_vector_typeIfLj2EEEEiEvS1_PKiPT2_llS2_IjLj3EEmmmmmmmmm.kd
    .uniform_work_group_size: 1
    .uses_dynamic_stack: false
    .vgpr_count:     24
    .vgpr_spill_count: 0
    .wavefront_size: 64
  - .agpr_count:     0
    .args:
      - .actual_access:  read_only
        .address_space:  global
        .offset:         0
        .size:           8
        .value_kind:     global_buffer
      - .actual_access:  read_only
        .address_space:  global
        .offset:         8
        .size:           8
        .value_kind:     global_buffer
      - .actual_access:  write_only
        .address_space:  global
        .offset:         16
        .size:           8
        .value_kind:     global_buffer
      - .offset:         24
        .size:           8
        .value_kind:     by_value
      - .offset:         32
        .size:           8
        .value_kind:     by_value
      - .offset:         40
        .size:           12
        .value_kind:     by_value
      - .offset:         56
        .size:           8
        .value_kind:     by_value
      - .offset:         64
        .size:           8
        .value_kind:     by_value
      - .offset:         72
        .size:           8
        .value_kind:     by_value
      - .offset:         80
        .size:           8
        .value_kind:     by_value
      - .offset:         88
        .size:           8
        .value_kind:     by_value
      - .offset:         96
        .size:           8
        .value_kind:     by_value
      - .offset:         104
        .size:           8
        .value_kind:     by_value
      - .offset:         112
        .size:           8
        .value_kind:     by_value
      - .offset:         120
        .size:           8
        .value_kind:     by_value
      - .offset:         128
        .size:           4
        .value_kind:     hidden_block_count_x
      - .offset:         132
        .size:           4
        .value_kind:     hidden_block_count_y
      - .offset:         136
        .size:           4
        .value_kind:     hidden_block_count_z
      - .offset:         140
        .size:           2
        .value_kind:     hidden_group_size_x
      - .offset:         142
        .size:           2
        .value_kind:     hidden_group_size_y
      - .offset:         144
        .size:           2
        .value_kind:     hidden_group_size_z
      - .offset:         146
        .size:           2
        .value_kind:     hidden_remainder_x
      - .offset:         148
        .size:           2
        .value_kind:     hidden_remainder_y
      - .offset:         150
        .size:           2
        .value_kind:     hidden_remainder_z
      - .offset:         168
        .size:           8
        .value_kind:     hidden_global_offset_x
      - .offset:         176
        .size:           8
        .value_kind:     hidden_global_offset_y
      - .offset:         184
        .size:           8
        .value_kind:     hidden_global_offset_z
      - .offset:         192
        .size:           2
        .value_kind:     hidden_grid_dims
    .group_segment_fixed_size: 0
    .kernarg_segment_align: 8
    .kernarg_segment_size: 384
    .language:       OpenCL C
    .language_version:
      - 2
      - 0
    .max_flat_workgroup_size: 1024
    .name:           _ZL10k_get_rowsILi32ELi2EXadL_ZL15dequantize_q4_0PKvliR15HIP_vector_typeIfLj2EEEEiEvS1_PKiPT2_llS2_IjLj3EEmmmmmmmmm
    .private_segment_fixed_size: 0
    .sgpr_count:     56
    .sgpr_spill_count: 0
    .symbol:         _ZL10k_get_rowsILi32ELi2EXadL_ZL15dequantize_q4_0PKvliR15HIP_vector_typeIfLj2EEEEiEvS1_PKiPT2_llS2_IjLj3EEmmmmmmmmm.kd
    .uniform_work_group_size: 1
    .uses_dynamic_stack: false
    .vgpr_count:     18
    .vgpr_spill_count: 0
    .wavefront_size: 64
  - .agpr_count:     0
    .args:
      - .actual_access:  read_only
        .address_space:  global
        .offset:         0
        .size:           8
        .value_kind:     global_buffer
      - .actual_access:  read_only
        .address_space:  global
        .offset:         8
        .size:           8
        .value_kind:     global_buffer
      - .actual_access:  write_only
        .address_space:  global
        .offset:         16
        .size:           8
        .value_kind:     global_buffer
      - .offset:         24
        .size:           8
        .value_kind:     by_value
      - .offset:         32
        .size:           8
        .value_kind:     by_value
      - .offset:         40
        .size:           12
        .value_kind:     by_value
      - .offset:         56
        .size:           8
        .value_kind:     by_value
      - .offset:         64
        .size:           8
        .value_kind:     by_value
      - .offset:         72
        .size:           8
        .value_kind:     by_value
      - .offset:         80
        .size:           8
        .value_kind:     by_value
      - .offset:         88
        .size:           8
        .value_kind:     by_value
      - .offset:         96
        .size:           8
        .value_kind:     by_value
      - .offset:         104
        .size:           8
        .value_kind:     by_value
      - .offset:         112
        .size:           8
        .value_kind:     by_value
      - .offset:         120
        .size:           8
        .value_kind:     by_value
      - .offset:         128
        .size:           4
        .value_kind:     hidden_block_count_x
      - .offset:         132
        .size:           4
        .value_kind:     hidden_block_count_y
      - .offset:         136
        .size:           4
        .value_kind:     hidden_block_count_z
      - .offset:         140
        .size:           2
        .value_kind:     hidden_group_size_x
      - .offset:         142
        .size:           2
        .value_kind:     hidden_group_size_y
      - .offset:         144
        .size:           2
        .value_kind:     hidden_group_size_z
      - .offset:         146
        .size:           2
        .value_kind:     hidden_remainder_x
      - .offset:         148
        .size:           2
        .value_kind:     hidden_remainder_y
      - .offset:         150
        .size:           2
        .value_kind:     hidden_remainder_z
      - .offset:         168
        .size:           8
        .value_kind:     hidden_global_offset_x
      - .offset:         176
        .size:           8
        .value_kind:     hidden_global_offset_y
      - .offset:         184
        .size:           8
        .value_kind:     hidden_global_offset_z
      - .offset:         192
        .size:           2
        .value_kind:     hidden_grid_dims
    .group_segment_fixed_size: 0
    .kernarg_segment_align: 8
    .kernarg_segment_size: 384
    .language:       OpenCL C
    .language_version:
      - 2
      - 0
    .max_flat_workgroup_size: 1024
    .name:           _ZL10k_get_rowsILi32ELi2EXadL_ZL15dequantize_q4_1PKvliR15HIP_vector_typeIfLj2EEEEiEvS1_PKiPT2_llS2_IjLj3EEmmmmmmmmm
    .private_segment_fixed_size: 0
    .sgpr_count:     56
    .sgpr_spill_count: 0
    .symbol:         _ZL10k_get_rowsILi32ELi2EXadL_ZL15dequantize_q4_1PKvliR15HIP_vector_typeIfLj2EEEEiEvS1_PKiPT2_llS2_IjLj3EEmmmmmmmmm.kd
    .uniform_work_group_size: 1
    .uses_dynamic_stack: false
    .vgpr_count:     18
    .vgpr_spill_count: 0
    .wavefront_size: 64
  - .agpr_count:     0
    .args:
      - .actual_access:  read_only
        .address_space:  global
        .offset:         0
        .size:           8
        .value_kind:     global_buffer
      - .actual_access:  read_only
        .address_space:  global
        .offset:         8
        .size:           8
        .value_kind:     global_buffer
      - .actual_access:  write_only
        .address_space:  global
        .offset:         16
        .size:           8
        .value_kind:     global_buffer
      - .offset:         24
        .size:           8
        .value_kind:     by_value
      - .offset:         32
        .size:           8
        .value_kind:     by_value
      - .offset:         40
        .size:           12
        .value_kind:     by_value
      - .offset:         56
        .size:           8
        .value_kind:     by_value
      - .offset:         64
        .size:           8
        .value_kind:     by_value
      - .offset:         72
        .size:           8
        .value_kind:     by_value
      - .offset:         80
        .size:           8
        .value_kind:     by_value
      - .offset:         88
        .size:           8
        .value_kind:     by_value
      - .offset:         96
        .size:           8
        .value_kind:     by_value
      - .offset:         104
        .size:           8
        .value_kind:     by_value
      - .offset:         112
        .size:           8
        .value_kind:     by_value
      - .offset:         120
        .size:           8
        .value_kind:     by_value
      - .offset:         128
        .size:           4
        .value_kind:     hidden_block_count_x
      - .offset:         132
        .size:           4
        .value_kind:     hidden_block_count_y
      - .offset:         136
        .size:           4
        .value_kind:     hidden_block_count_z
      - .offset:         140
        .size:           2
        .value_kind:     hidden_group_size_x
      - .offset:         142
        .size:           2
        .value_kind:     hidden_group_size_y
      - .offset:         144
        .size:           2
        .value_kind:     hidden_group_size_z
      - .offset:         146
        .size:           2
        .value_kind:     hidden_remainder_x
      - .offset:         148
        .size:           2
        .value_kind:     hidden_remainder_y
      - .offset:         150
        .size:           2
        .value_kind:     hidden_remainder_z
      - .offset:         168
        .size:           8
        .value_kind:     hidden_global_offset_x
      - .offset:         176
        .size:           8
        .value_kind:     hidden_global_offset_y
      - .offset:         184
        .size:           8
        .value_kind:     hidden_global_offset_z
      - .offset:         192
        .size:           2
        .value_kind:     hidden_grid_dims
    .group_segment_fixed_size: 0
    .kernarg_segment_align: 8
    .kernarg_segment_size: 384
    .language:       OpenCL C
    .language_version:
      - 2
      - 0
    .max_flat_workgroup_size: 1024
    .name:           _ZL10k_get_rowsILi32ELi2EXadL_ZL15dequantize_q5_0PKvliR15HIP_vector_typeIfLj2EEEEiEvS1_PKiPT2_llS2_IjLj3EEmmmmmmmmm
    .private_segment_fixed_size: 0
    .sgpr_count:     56
    .sgpr_spill_count: 0
    .symbol:         _ZL10k_get_rowsILi32ELi2EXadL_ZL15dequantize_q5_0PKvliR15HIP_vector_typeIfLj2EEEEiEvS1_PKiPT2_llS2_IjLj3EEmmmmmmmmm.kd
    .uniform_work_group_size: 1
    .uses_dynamic_stack: false
    .vgpr_count:     19
    .vgpr_spill_count: 0
    .wavefront_size: 64
  - .agpr_count:     0
    .args:
      - .actual_access:  read_only
        .address_space:  global
        .offset:         0
        .size:           8
        .value_kind:     global_buffer
      - .actual_access:  read_only
        .address_space:  global
        .offset:         8
        .size:           8
        .value_kind:     global_buffer
      - .actual_access:  write_only
        .address_space:  global
        .offset:         16
        .size:           8
        .value_kind:     global_buffer
      - .offset:         24
        .size:           8
        .value_kind:     by_value
      - .offset:         32
        .size:           8
        .value_kind:     by_value
      - .offset:         40
        .size:           12
        .value_kind:     by_value
      - .offset:         56
        .size:           8
        .value_kind:     by_value
      - .offset:         64
        .size:           8
        .value_kind:     by_value
      - .offset:         72
        .size:           8
        .value_kind:     by_value
      - .offset:         80
        .size:           8
        .value_kind:     by_value
      - .offset:         88
        .size:           8
        .value_kind:     by_value
      - .offset:         96
        .size:           8
        .value_kind:     by_value
      - .offset:         104
        .size:           8
        .value_kind:     by_value
      - .offset:         112
        .size:           8
        .value_kind:     by_value
      - .offset:         120
        .size:           8
        .value_kind:     by_value
      - .offset:         128
        .size:           4
        .value_kind:     hidden_block_count_x
      - .offset:         132
        .size:           4
        .value_kind:     hidden_block_count_y
      - .offset:         136
        .size:           4
        .value_kind:     hidden_block_count_z
      - .offset:         140
        .size:           2
        .value_kind:     hidden_group_size_x
      - .offset:         142
        .size:           2
        .value_kind:     hidden_group_size_y
      - .offset:         144
        .size:           2
        .value_kind:     hidden_group_size_z
      - .offset:         146
        .size:           2
        .value_kind:     hidden_remainder_x
      - .offset:         148
        .size:           2
        .value_kind:     hidden_remainder_y
      - .offset:         150
        .size:           2
        .value_kind:     hidden_remainder_z
      - .offset:         168
        .size:           8
        .value_kind:     hidden_global_offset_x
      - .offset:         176
        .size:           8
        .value_kind:     hidden_global_offset_y
      - .offset:         184
        .size:           8
        .value_kind:     hidden_global_offset_z
      - .offset:         192
        .size:           2
        .value_kind:     hidden_grid_dims
    .group_segment_fixed_size: 0
    .kernarg_segment_align: 8
    .kernarg_segment_size: 384
    .language:       OpenCL C
    .language_version:
      - 2
      - 0
    .max_flat_workgroup_size: 1024
    .name:           _ZL10k_get_rowsILi32ELi2EXadL_ZL15dequantize_q5_1PKvliR15HIP_vector_typeIfLj2EEEEiEvS1_PKiPT2_llS2_IjLj3EEmmmmmmmmm
    .private_segment_fixed_size: 0
    .sgpr_count:     56
    .sgpr_spill_count: 0
    .symbol:         _ZL10k_get_rowsILi32ELi2EXadL_ZL15dequantize_q5_1PKvliR15HIP_vector_typeIfLj2EEEEiEvS1_PKiPT2_llS2_IjLj3EEmmmmmmmmm.kd
    .uniform_work_group_size: 1
    .uses_dynamic_stack: false
    .vgpr_count:     18
    .vgpr_spill_count: 0
    .wavefront_size: 64
  - .agpr_count:     0
    .args:
      - .actual_access:  read_only
        .address_space:  global
        .offset:         0
        .size:           8
        .value_kind:     global_buffer
      - .actual_access:  read_only
        .address_space:  global
        .offset:         8
        .size:           8
        .value_kind:     global_buffer
      - .actual_access:  write_only
        .address_space:  global
        .offset:         16
        .size:           8
        .value_kind:     global_buffer
      - .offset:         24
        .size:           8
        .value_kind:     by_value
      - .offset:         32
        .size:           8
        .value_kind:     by_value
      - .offset:         40
        .size:           12
        .value_kind:     by_value
      - .offset:         56
        .size:           8
        .value_kind:     by_value
      - .offset:         64
        .size:           8
        .value_kind:     by_value
      - .offset:         72
        .size:           8
        .value_kind:     by_value
      - .offset:         80
        .size:           8
        .value_kind:     by_value
      - .offset:         88
        .size:           8
        .value_kind:     by_value
      - .offset:         96
        .size:           8
        .value_kind:     by_value
      - .offset:         104
        .size:           8
        .value_kind:     by_value
      - .offset:         112
        .size:           8
        .value_kind:     by_value
      - .offset:         120
        .size:           8
        .value_kind:     by_value
      - .offset:         128
        .size:           4
        .value_kind:     hidden_block_count_x
      - .offset:         132
        .size:           4
        .value_kind:     hidden_block_count_y
      - .offset:         136
        .size:           4
        .value_kind:     hidden_block_count_z
      - .offset:         140
        .size:           2
        .value_kind:     hidden_group_size_x
      - .offset:         142
        .size:           2
        .value_kind:     hidden_group_size_y
      - .offset:         144
        .size:           2
        .value_kind:     hidden_group_size_z
      - .offset:         146
        .size:           2
        .value_kind:     hidden_remainder_x
      - .offset:         148
        .size:           2
        .value_kind:     hidden_remainder_y
      - .offset:         150
        .size:           2
        .value_kind:     hidden_remainder_z
      - .offset:         168
        .size:           8
        .value_kind:     hidden_global_offset_x
      - .offset:         176
        .size:           8
        .value_kind:     hidden_global_offset_y
      - .offset:         184
        .size:           8
        .value_kind:     hidden_global_offset_z
      - .offset:         192
        .size:           2
        .value_kind:     hidden_grid_dims
    .group_segment_fixed_size: 0
    .kernarg_segment_align: 8
    .kernarg_segment_size: 384
    .language:       OpenCL C
    .language_version:
      - 2
      - 0
    .max_flat_workgroup_size: 1024
    .name:           _ZL10k_get_rowsILi32ELi1EXadL_ZL15dequantize_q8_0PKvliR15HIP_vector_typeIfLj2EEEEiEvS1_PKiPT2_llS2_IjLj3EEmmmmmmmmm
    .private_segment_fixed_size: 0
    .sgpr_count:     56
    .sgpr_spill_count: 0
    .symbol:         _ZL10k_get_rowsILi32ELi1EXadL_ZL15dequantize_q8_0PKvliR15HIP_vector_typeIfLj2EEEEiEvS1_PKiPT2_llS2_IjLj3EEmmmmmmmmm.kd
    .uniform_work_group_size: 1
    .uses_dynamic_stack: false
    .vgpr_count:     21
    .vgpr_spill_count: 0
    .wavefront_size: 64
  - .agpr_count:     0
    .args:
      - .address_space:  global
        .offset:         0
        .size:           8
        .value_kind:     global_buffer
      - .address_space:  global
        .offset:         8
        .size:           8
        .value_kind:     global_buffer
      - .address_space:  global
        .offset:         16
        .size:           8
        .value_kind:     global_buffer
      - .offset:         24
        .size:           8
        .value_kind:     by_value
      - .offset:         32
        .size:           8
        .value_kind:     by_value
      - .offset:         40
        .size:           12
        .value_kind:     by_value
      - .offset:         56
        .size:           8
        .value_kind:     by_value
      - .offset:         64
        .size:           8
        .value_kind:     by_value
      - .offset:         72
        .size:           8
        .value_kind:     by_value
      - .offset:         80
        .size:           8
        .value_kind:     by_value
      - .offset:         88
        .size:           8
        .value_kind:     by_value
      - .offset:         96
        .size:           8
        .value_kind:     by_value
      - .offset:         104
        .size:           8
        .value_kind:     by_value
      - .offset:         112
        .size:           8
        .value_kind:     by_value
      - .offset:         120
        .size:           8
        .value_kind:     by_value
      - .offset:         128
        .size:           4
        .value_kind:     hidden_block_count_x
      - .offset:         132
        .size:           4
        .value_kind:     hidden_block_count_y
      - .offset:         136
        .size:           4
        .value_kind:     hidden_block_count_z
      - .offset:         140
        .size:           2
        .value_kind:     hidden_group_size_x
      - .offset:         142
        .size:           2
        .value_kind:     hidden_group_size_y
      - .offset:         144
        .size:           2
        .value_kind:     hidden_group_size_z
      - .offset:         146
        .size:           2
        .value_kind:     hidden_remainder_x
      - .offset:         148
        .size:           2
        .value_kind:     hidden_remainder_y
      - .offset:         150
        .size:           2
        .value_kind:     hidden_remainder_z
      - .offset:         168
        .size:           8
        .value_kind:     hidden_global_offset_x
      - .offset:         176
        .size:           8
        .value_kind:     hidden_global_offset_y
      - .offset:         184
        .size:           8
        .value_kind:     hidden_global_offset_z
      - .offset:         192
        .size:           2
        .value_kind:     hidden_grid_dims
    .group_segment_fixed_size: 0
    .kernarg_segment_align: 8
    .kernarg_segment_size: 384
    .language:       OpenCL C
    .language_version:
      - 2
      - 0
    .max_flat_workgroup_size: 1024
    .name:           _ZL16k_get_rows_floatI6__halfS0_EvPKT_PKiPT0_ll15HIP_vector_typeIjLj3EEmmmmmmmmm
    .private_segment_fixed_size: 0
    .sgpr_count:     50
    .sgpr_spill_count: 0
    .symbol:         _ZL16k_get_rows_floatI6__halfS0_EvPKT_PKiPT0_ll15HIP_vector_typeIjLj3EEmmmmmmmmm.kd
    .uniform_work_group_size: 1
    .uses_dynamic_stack: false
    .vgpr_count:     18
    .vgpr_spill_count: 0
    .wavefront_size: 64
  - .agpr_count:     0
    .args:
      - .address_space:  global
        .offset:         0
        .size:           8
        .value_kind:     global_buffer
      - .address_space:  global
        .offset:         8
        .size:           8
        .value_kind:     global_buffer
      - .address_space:  global
        .offset:         16
        .size:           8
        .value_kind:     global_buffer
      - .offset:         24
        .size:           8
        .value_kind:     by_value
      - .offset:         32
        .size:           8
        .value_kind:     by_value
      - .offset:         40
        .size:           12
        .value_kind:     by_value
      - .offset:         56
        .size:           8
        .value_kind:     by_value
      - .offset:         64
        .size:           8
        .value_kind:     by_value
      - .offset:         72
        .size:           8
        .value_kind:     by_value
      - .offset:         80
        .size:           8
        .value_kind:     by_value
      - .offset:         88
        .size:           8
        .value_kind:     by_value
      - .offset:         96
        .size:           8
        .value_kind:     by_value
      - .offset:         104
        .size:           8
        .value_kind:     by_value
      - .offset:         112
        .size:           8
        .value_kind:     by_value
      - .offset:         120
        .size:           8
        .value_kind:     by_value
      - .offset:         128
        .size:           4
        .value_kind:     hidden_block_count_x
      - .offset:         132
        .size:           4
        .value_kind:     hidden_block_count_y
      - .offset:         136
        .size:           4
        .value_kind:     hidden_block_count_z
      - .offset:         140
        .size:           2
        .value_kind:     hidden_group_size_x
      - .offset:         142
        .size:           2
        .value_kind:     hidden_group_size_y
      - .offset:         144
        .size:           2
        .value_kind:     hidden_group_size_z
      - .offset:         146
        .size:           2
        .value_kind:     hidden_remainder_x
      - .offset:         148
        .size:           2
        .value_kind:     hidden_remainder_y
      - .offset:         150
        .size:           2
        .value_kind:     hidden_remainder_z
      - .offset:         168
        .size:           8
        .value_kind:     hidden_global_offset_x
      - .offset:         176
        .size:           8
        .value_kind:     hidden_global_offset_y
      - .offset:         184
        .size:           8
        .value_kind:     hidden_global_offset_z
      - .offset:         192
        .size:           2
        .value_kind:     hidden_grid_dims
    .group_segment_fixed_size: 0
    .kernarg_segment_align: 8
    .kernarg_segment_size: 384
    .language:       OpenCL C
    .language_version:
      - 2
      - 0
    .max_flat_workgroup_size: 1024
    .name:           _ZL16k_get_rows_floatIf6__halfEvPKT_PKiPT0_ll15HIP_vector_typeIjLj3EEmmmmmmmmm
    .private_segment_fixed_size: 0
    .sgpr_count:     50
    .sgpr_spill_count: 0
    .symbol:         _ZL16k_get_rows_floatIf6__halfEvPKT_PKiPT0_ll15HIP_vector_typeIjLj3EEmmmmmmmmm.kd
    .uniform_work_group_size: 1
    .uses_dynamic_stack: false
    .vgpr_count:     18
    .vgpr_spill_count: 0
    .wavefront_size: 64
  - .agpr_count:     0
    .args:
      - .address_space:  global
        .offset:         0
        .size:           8
        .value_kind:     global_buffer
      - .address_space:  global
        .offset:         8
        .size:           8
        .value_kind:     global_buffer
      - .address_space:  global
        .offset:         16
        .size:           8
        .value_kind:     global_buffer
      - .offset:         24
        .size:           8
        .value_kind:     by_value
      - .offset:         32
        .size:           8
        .value_kind:     by_value
      - .offset:         40
        .size:           12
        .value_kind:     by_value
      - .offset:         56
        .size:           8
        .value_kind:     by_value
      - .offset:         64
        .size:           8
        .value_kind:     by_value
      - .offset:         72
        .size:           8
        .value_kind:     by_value
      - .offset:         80
        .size:           8
        .value_kind:     by_value
      - .offset:         88
        .size:           8
        .value_kind:     by_value
      - .offset:         96
        .size:           8
        .value_kind:     by_value
      - .offset:         104
        .size:           8
        .value_kind:     by_value
      - .offset:         112
        .size:           8
        .value_kind:     by_value
      - .offset:         120
        .size:           8
        .value_kind:     by_value
      - .offset:         128
        .size:           4
        .value_kind:     hidden_block_count_x
      - .offset:         132
        .size:           4
        .value_kind:     hidden_block_count_y
      - .offset:         136
        .size:           4
        .value_kind:     hidden_block_count_z
      - .offset:         140
        .size:           2
        .value_kind:     hidden_group_size_x
      - .offset:         142
        .size:           2
        .value_kind:     hidden_group_size_y
      - .offset:         144
        .size:           2
        .value_kind:     hidden_group_size_z
      - .offset:         146
        .size:           2
        .value_kind:     hidden_remainder_x
      - .offset:         148
        .size:           2
        .value_kind:     hidden_remainder_y
      - .offset:         150
        .size:           2
        .value_kind:     hidden_remainder_z
      - .offset:         168
        .size:           8
        .value_kind:     hidden_global_offset_x
      - .offset:         176
        .size:           8
        .value_kind:     hidden_global_offset_y
      - .offset:         184
        .size:           8
        .value_kind:     hidden_global_offset_z
      - .offset:         192
        .size:           2
        .value_kind:     hidden_grid_dims
    .group_segment_fixed_size: 0
    .kernarg_segment_align: 8
    .kernarg_segment_size: 384
    .language:       OpenCL C
    .language_version:
      - 2
      - 0
    .max_flat_workgroup_size: 1024
    .name:           _ZL16k_get_rows_floatIi6__halfEvPKT_PKiPT0_ll15HIP_vector_typeIjLj3EEmmmmmmmmm
    .private_segment_fixed_size: 0
    .sgpr_count:     50
    .sgpr_spill_count: 0
    .symbol:         _ZL16k_get_rows_floatIi6__halfEvPKT_PKiPT0_ll15HIP_vector_typeIjLj3EEmmmmmmmmm.kd
    .uniform_work_group_size: 1
    .uses_dynamic_stack: false
    .vgpr_count:     18
    .vgpr_spill_count: 0
    .wavefront_size: 64
  - .agpr_count:     0
    .args:
      - .address_space:  global
        .offset:         0
        .size:           8
        .value_kind:     global_buffer
      - .address_space:  global
        .offset:         8
        .size:           8
        .value_kind:     global_buffer
      - .address_space:  global
        .offset:         16
        .size:           8
        .value_kind:     global_buffer
      - .offset:         24
        .size:           8
        .value_kind:     by_value
      - .offset:         32
        .size:           8
        .value_kind:     by_value
      - .offset:         40
        .size:           12
        .value_kind:     by_value
      - .offset:         56
        .size:           8
        .value_kind:     by_value
      - .offset:         64
        .size:           8
        .value_kind:     by_value
      - .offset:         72
        .size:           8
        .value_kind:     by_value
      - .offset:         80
        .size:           8
        .value_kind:     by_value
      - .offset:         88
        .size:           8
        .value_kind:     by_value
      - .offset:         96
        .size:           8
        .value_kind:     by_value
      - .offset:         104
        .size:           8
        .value_kind:     by_value
      - .offset:         112
        .size:           8
        .value_kind:     by_value
      - .offset:         120
        .size:           8
        .value_kind:     by_value
      - .offset:         128
        .size:           4
        .value_kind:     hidden_block_count_x
      - .offset:         132
        .size:           4
        .value_kind:     hidden_block_count_y
      - .offset:         136
        .size:           4
        .value_kind:     hidden_block_count_z
      - .offset:         140
        .size:           2
        .value_kind:     hidden_group_size_x
      - .offset:         142
        .size:           2
        .value_kind:     hidden_group_size_y
      - .offset:         144
        .size:           2
        .value_kind:     hidden_group_size_z
      - .offset:         146
        .size:           2
        .value_kind:     hidden_remainder_x
      - .offset:         148
        .size:           2
        .value_kind:     hidden_remainder_y
      - .offset:         150
        .size:           2
        .value_kind:     hidden_remainder_z
      - .offset:         168
        .size:           8
        .value_kind:     hidden_global_offset_x
      - .offset:         176
        .size:           8
        .value_kind:     hidden_global_offset_y
      - .offset:         184
        .size:           8
        .value_kind:     hidden_global_offset_z
      - .offset:         192
        .size:           2
        .value_kind:     hidden_grid_dims
    .group_segment_fixed_size: 0
    .kernarg_segment_align: 8
    .kernarg_segment_size: 384
    .language:       OpenCL C
    .language_version:
      - 2
      - 0
    .max_flat_workgroup_size: 1024
    .name:           _ZL16k_get_rows_floatI14__hip_bfloat166__halfEvPKT_PKiPT0_ll15HIP_vector_typeIjLj3EEmmmmmmmmm
    .private_segment_fixed_size: 0
    .sgpr_count:     50
    .sgpr_spill_count: 0
    .symbol:         _ZL16k_get_rows_floatI14__hip_bfloat166__halfEvPKT_PKiPT0_ll15HIP_vector_typeIjLj3EEmmmmmmmmm.kd
    .uniform_work_group_size: 1
    .uses_dynamic_stack: false
    .vgpr_count:     18
    .vgpr_spill_count: 0
    .wavefront_size: 64
  - .agpr_count:     0
    .args:
      - .actual_access:  read_only
        .address_space:  global
        .offset:         0
        .size:           8
        .value_kind:     global_buffer
      - .actual_access:  read_only
        .address_space:  global
        .offset:         8
        .size:           8
        .value_kind:     global_buffer
      - .actual_access:  write_only
        .address_space:  global
        .offset:         16
        .size:           8
        .value_kind:     global_buffer
      - .offset:         24
        .size:           8
        .value_kind:     by_value
      - .offset:         32
        .size:           8
        .value_kind:     by_value
      - .offset:         40
        .size:           12
        .value_kind:     by_value
      - .offset:         56
        .size:           8
        .value_kind:     by_value
      - .offset:         64
        .size:           8
        .value_kind:     by_value
      - .offset:         72
        .size:           8
        .value_kind:     by_value
      - .offset:         80
        .size:           8
        .value_kind:     by_value
      - .offset:         88
        .size:           8
        .value_kind:     by_value
      - .offset:         96
        .size:           8
        .value_kind:     by_value
      - .offset:         104
        .size:           8
        .value_kind:     by_value
      - .offset:         112
        .size:           8
        .value_kind:     by_value
      - .offset:         120
        .size:           8
        .value_kind:     by_value
      - .offset:         128
        .size:           4
        .value_kind:     hidden_block_count_x
      - .offset:         132
        .size:           4
        .value_kind:     hidden_block_count_y
      - .offset:         136
        .size:           4
        .value_kind:     hidden_block_count_z
      - .offset:         140
        .size:           2
        .value_kind:     hidden_group_size_x
      - .offset:         142
        .size:           2
        .value_kind:     hidden_group_size_y
      - .offset:         144
        .size:           2
        .value_kind:     hidden_group_size_z
      - .offset:         146
        .size:           2
        .value_kind:     hidden_remainder_x
      - .offset:         148
        .size:           2
        .value_kind:     hidden_remainder_y
      - .offset:         150
        .size:           2
        .value_kind:     hidden_remainder_z
      - .offset:         168
        .size:           8
        .value_kind:     hidden_global_offset_x
      - .offset:         176
        .size:           8
        .value_kind:     hidden_global_offset_y
      - .offset:         184
        .size:           8
        .value_kind:     hidden_global_offset_z
      - .offset:         192
        .size:           2
        .value_kind:     hidden_grid_dims
    .group_segment_fixed_size: 0
    .kernarg_segment_align: 8
    .kernarg_segment_size: 384
    .language:       OpenCL C
    .language_version:
      - 2
      - 0
    .max_flat_workgroup_size: 1024
    .name:           _ZL10k_get_rowsILi128ELi1EXadL_ZL15dequantize_q1_0PKvliR15HIP_vector_typeIfLj2EEEE6__halfEvS1_PKiPT2_llS2_IjLj3EEmmmmmmmmm
    .private_segment_fixed_size: 0
    .sgpr_count:     56
    .sgpr_spill_count: 0
    .symbol:         _ZL10k_get_rowsILi128ELi1EXadL_ZL15dequantize_q1_0PKvliR15HIP_vector_typeIfLj2EEEE6__halfEvS1_PKiPT2_llS2_IjLj3EEmmmmmmmmm.kd
    .uniform_work_group_size: 1
    .uses_dynamic_stack: false
    .vgpr_count:     24
    .vgpr_spill_count: 0
    .wavefront_size: 64
  - .agpr_count:     0
    .args:
      - .actual_access:  read_only
        .address_space:  global
        .offset:         0
        .size:           8
        .value_kind:     global_buffer
      - .actual_access:  read_only
        .address_space:  global
        .offset:         8
        .size:           8
        .value_kind:     global_buffer
      - .actual_access:  write_only
        .address_space:  global
        .offset:         16
        .size:           8
        .value_kind:     global_buffer
      - .offset:         24
        .size:           8
        .value_kind:     by_value
      - .offset:         32
        .size:           8
        .value_kind:     by_value
      - .offset:         40
        .size:           12
        .value_kind:     by_value
      - .offset:         56
        .size:           8
        .value_kind:     by_value
      - .offset:         64
        .size:           8
        .value_kind:     by_value
      - .offset:         72
        .size:           8
        .value_kind:     by_value
      - .offset:         80
        .size:           8
        .value_kind:     by_value
      - .offset:         88
        .size:           8
        .value_kind:     by_value
      - .offset:         96
        .size:           8
        .value_kind:     by_value
      - .offset:         104
        .size:           8
        .value_kind:     by_value
      - .offset:         112
        .size:           8
        .value_kind:     by_value
      - .offset:         120
        .size:           8
        .value_kind:     by_value
      - .offset:         128
        .size:           4
        .value_kind:     hidden_block_count_x
      - .offset:         132
        .size:           4
        .value_kind:     hidden_block_count_y
      - .offset:         136
        .size:           4
        .value_kind:     hidden_block_count_z
      - .offset:         140
        .size:           2
        .value_kind:     hidden_group_size_x
      - .offset:         142
        .size:           2
        .value_kind:     hidden_group_size_y
      - .offset:         144
        .size:           2
        .value_kind:     hidden_group_size_z
      - .offset:         146
        .size:           2
        .value_kind:     hidden_remainder_x
      - .offset:         148
        .size:           2
        .value_kind:     hidden_remainder_y
      - .offset:         150
        .size:           2
        .value_kind:     hidden_remainder_z
      - .offset:         168
        .size:           8
        .value_kind:     hidden_global_offset_x
      - .offset:         176
        .size:           8
        .value_kind:     hidden_global_offset_y
      - .offset:         184
        .size:           8
        .value_kind:     hidden_global_offset_z
      - .offset:         192
        .size:           2
        .value_kind:     hidden_grid_dims
    .group_segment_fixed_size: 0
    .kernarg_segment_align: 8
    .kernarg_segment_size: 384
    .language:       OpenCL C
    .language_version:
      - 2
      - 0
    .max_flat_workgroup_size: 1024
    .name:           _ZL10k_get_rowsILi32ELi2EXadL_ZL15dequantize_q4_0PKvliR15HIP_vector_typeIfLj2EEEE6__halfEvS1_PKiPT2_llS2_IjLj3EEmmmmmmmmm
    .private_segment_fixed_size: 0
    .sgpr_count:     56
    .sgpr_spill_count: 0
    .symbol:         _ZL10k_get_rowsILi32ELi2EXadL_ZL15dequantize_q4_0PKvliR15HIP_vector_typeIfLj2EEEE6__halfEvS1_PKiPT2_llS2_IjLj3EEmmmmmmmmm.kd
    .uniform_work_group_size: 1
    .uses_dynamic_stack: false
    .vgpr_count:     18
    .vgpr_spill_count: 0
    .wavefront_size: 64
  - .agpr_count:     0
    .args:
      - .actual_access:  read_only
        .address_space:  global
        .offset:         0
        .size:           8
        .value_kind:     global_buffer
      - .actual_access:  read_only
        .address_space:  global
        .offset:         8
        .size:           8
        .value_kind:     global_buffer
      - .actual_access:  write_only
        .address_space:  global
        .offset:         16
        .size:           8
        .value_kind:     global_buffer
      - .offset:         24
        .size:           8
        .value_kind:     by_value
      - .offset:         32
        .size:           8
        .value_kind:     by_value
      - .offset:         40
        .size:           12
        .value_kind:     by_value
      - .offset:         56
        .size:           8
        .value_kind:     by_value
      - .offset:         64
        .size:           8
        .value_kind:     by_value
      - .offset:         72
        .size:           8
        .value_kind:     by_value
      - .offset:         80
        .size:           8
        .value_kind:     by_value
      - .offset:         88
        .size:           8
        .value_kind:     by_value
      - .offset:         96
        .size:           8
        .value_kind:     by_value
      - .offset:         104
        .size:           8
        .value_kind:     by_value
      - .offset:         112
        .size:           8
        .value_kind:     by_value
      - .offset:         120
        .size:           8
        .value_kind:     by_value
      - .offset:         128
        .size:           4
        .value_kind:     hidden_block_count_x
      - .offset:         132
        .size:           4
        .value_kind:     hidden_block_count_y
      - .offset:         136
        .size:           4
        .value_kind:     hidden_block_count_z
      - .offset:         140
        .size:           2
        .value_kind:     hidden_group_size_x
      - .offset:         142
        .size:           2
        .value_kind:     hidden_group_size_y
      - .offset:         144
        .size:           2
        .value_kind:     hidden_group_size_z
      - .offset:         146
        .size:           2
        .value_kind:     hidden_remainder_x
      - .offset:         148
        .size:           2
        .value_kind:     hidden_remainder_y
      - .offset:         150
        .size:           2
        .value_kind:     hidden_remainder_z
      - .offset:         168
        .size:           8
        .value_kind:     hidden_global_offset_x
      - .offset:         176
        .size:           8
        .value_kind:     hidden_global_offset_y
      - .offset:         184
        .size:           8
        .value_kind:     hidden_global_offset_z
      - .offset:         192
        .size:           2
        .value_kind:     hidden_grid_dims
    .group_segment_fixed_size: 0
    .kernarg_segment_align: 8
    .kernarg_segment_size: 384
    .language:       OpenCL C
    .language_version:
      - 2
      - 0
    .max_flat_workgroup_size: 1024
    .name:           _ZL10k_get_rowsILi32ELi2EXadL_ZL15dequantize_q4_1PKvliR15HIP_vector_typeIfLj2EEEE6__halfEvS1_PKiPT2_llS2_IjLj3EEmmmmmmmmm
    .private_segment_fixed_size: 0
    .sgpr_count:     56
    .sgpr_spill_count: 0
    .symbol:         _ZL10k_get_rowsILi32ELi2EXadL_ZL15dequantize_q4_1PKvliR15HIP_vector_typeIfLj2EEEE6__halfEvS1_PKiPT2_llS2_IjLj3EEmmmmmmmmm.kd
    .uniform_work_group_size: 1
    .uses_dynamic_stack: false
    .vgpr_count:     18
    .vgpr_spill_count: 0
    .wavefront_size: 64
  - .agpr_count:     0
    .args:
      - .actual_access:  read_only
        .address_space:  global
        .offset:         0
        .size:           8
        .value_kind:     global_buffer
      - .actual_access:  read_only
        .address_space:  global
        .offset:         8
        .size:           8
        .value_kind:     global_buffer
      - .actual_access:  write_only
        .address_space:  global
        .offset:         16
        .size:           8
        .value_kind:     global_buffer
      - .offset:         24
        .size:           8
        .value_kind:     by_value
      - .offset:         32
        .size:           8
        .value_kind:     by_value
      - .offset:         40
        .size:           12
        .value_kind:     by_value
      - .offset:         56
        .size:           8
        .value_kind:     by_value
      - .offset:         64
        .size:           8
        .value_kind:     by_value
      - .offset:         72
        .size:           8
        .value_kind:     by_value
      - .offset:         80
        .size:           8
        .value_kind:     by_value
      - .offset:         88
        .size:           8
        .value_kind:     by_value
      - .offset:         96
        .size:           8
        .value_kind:     by_value
      - .offset:         104
        .size:           8
        .value_kind:     by_value
      - .offset:         112
        .size:           8
        .value_kind:     by_value
      - .offset:         120
        .size:           8
        .value_kind:     by_value
      - .offset:         128
        .size:           4
        .value_kind:     hidden_block_count_x
      - .offset:         132
        .size:           4
        .value_kind:     hidden_block_count_y
      - .offset:         136
        .size:           4
        .value_kind:     hidden_block_count_z
      - .offset:         140
        .size:           2
        .value_kind:     hidden_group_size_x
      - .offset:         142
        .size:           2
        .value_kind:     hidden_group_size_y
      - .offset:         144
        .size:           2
        .value_kind:     hidden_group_size_z
      - .offset:         146
        .size:           2
        .value_kind:     hidden_remainder_x
      - .offset:         148
        .size:           2
        .value_kind:     hidden_remainder_y
      - .offset:         150
        .size:           2
        .value_kind:     hidden_remainder_z
      - .offset:         168
        .size:           8
        .value_kind:     hidden_global_offset_x
      - .offset:         176
        .size:           8
        .value_kind:     hidden_global_offset_y
      - .offset:         184
        .size:           8
        .value_kind:     hidden_global_offset_z
      - .offset:         192
        .size:           2
        .value_kind:     hidden_grid_dims
    .group_segment_fixed_size: 0
    .kernarg_segment_align: 8
    .kernarg_segment_size: 384
    .language:       OpenCL C
    .language_version:
      - 2
      - 0
    .max_flat_workgroup_size: 1024
    .name:           _ZL10k_get_rowsILi32ELi2EXadL_ZL15dequantize_q5_0PKvliR15HIP_vector_typeIfLj2EEEE6__halfEvS1_PKiPT2_llS2_IjLj3EEmmmmmmmmm
    .private_segment_fixed_size: 0
    .sgpr_count:     56
    .sgpr_spill_count: 0
    .symbol:         _ZL10k_get_rowsILi32ELi2EXadL_ZL15dequantize_q5_0PKvliR15HIP_vector_typeIfLj2EEEE6__halfEvS1_PKiPT2_llS2_IjLj3EEmmmmmmmmm.kd
    .uniform_work_group_size: 1
    .uses_dynamic_stack: false
    .vgpr_count:     18
    .vgpr_spill_count: 0
    .wavefront_size: 64
  - .agpr_count:     0
    .args:
      - .actual_access:  read_only
        .address_space:  global
        .offset:         0
        .size:           8
        .value_kind:     global_buffer
      - .actual_access:  read_only
        .address_space:  global
        .offset:         8
        .size:           8
        .value_kind:     global_buffer
      - .actual_access:  write_only
        .address_space:  global
        .offset:         16
        .size:           8
        .value_kind:     global_buffer
      - .offset:         24
        .size:           8
        .value_kind:     by_value
      - .offset:         32
        .size:           8
        .value_kind:     by_value
      - .offset:         40
        .size:           12
        .value_kind:     by_value
      - .offset:         56
        .size:           8
        .value_kind:     by_value
      - .offset:         64
        .size:           8
        .value_kind:     by_value
      - .offset:         72
        .size:           8
        .value_kind:     by_value
      - .offset:         80
        .size:           8
        .value_kind:     by_value
      - .offset:         88
        .size:           8
        .value_kind:     by_value
      - .offset:         96
        .size:           8
        .value_kind:     by_value
      - .offset:         104
        .size:           8
        .value_kind:     by_value
      - .offset:         112
        .size:           8
        .value_kind:     by_value
      - .offset:         120
        .size:           8
        .value_kind:     by_value
      - .offset:         128
        .size:           4
        .value_kind:     hidden_block_count_x
      - .offset:         132
        .size:           4
        .value_kind:     hidden_block_count_y
      - .offset:         136
        .size:           4
        .value_kind:     hidden_block_count_z
      - .offset:         140
        .size:           2
        .value_kind:     hidden_group_size_x
      - .offset:         142
        .size:           2
        .value_kind:     hidden_group_size_y
      - .offset:         144
        .size:           2
        .value_kind:     hidden_group_size_z
      - .offset:         146
        .size:           2
        .value_kind:     hidden_remainder_x
      - .offset:         148
        .size:           2
        .value_kind:     hidden_remainder_y
      - .offset:         150
        .size:           2
        .value_kind:     hidden_remainder_z
      - .offset:         168
        .size:           8
        .value_kind:     hidden_global_offset_x
      - .offset:         176
        .size:           8
        .value_kind:     hidden_global_offset_y
      - .offset:         184
        .size:           8
        .value_kind:     hidden_global_offset_z
      - .offset:         192
        .size:           2
        .value_kind:     hidden_grid_dims
    .group_segment_fixed_size: 0
    .kernarg_segment_align: 8
    .kernarg_segment_size: 384
    .language:       OpenCL C
    .language_version:
      - 2
      - 0
    .max_flat_workgroup_size: 1024
    .name:           _ZL10k_get_rowsILi32ELi2EXadL_ZL15dequantize_q5_1PKvliR15HIP_vector_typeIfLj2EEEE6__halfEvS1_PKiPT2_llS2_IjLj3EEmmmmmmmmm
    .private_segment_fixed_size: 0
    .sgpr_count:     56
    .sgpr_spill_count: 0
    .symbol:         _ZL10k_get_rowsILi32ELi2EXadL_ZL15dequantize_q5_1PKvliR15HIP_vector_typeIfLj2EEEE6__halfEvS1_PKiPT2_llS2_IjLj3EEmmmmmmmmm.kd
    .uniform_work_group_size: 1
    .uses_dynamic_stack: false
    .vgpr_count:     18
    .vgpr_spill_count: 0
    .wavefront_size: 64
  - .agpr_count:     0
    .args:
      - .actual_access:  read_only
        .address_space:  global
        .offset:         0
        .size:           8
        .value_kind:     global_buffer
      - .actual_access:  read_only
        .address_space:  global
        .offset:         8
        .size:           8
        .value_kind:     global_buffer
      - .actual_access:  write_only
        .address_space:  global
        .offset:         16
        .size:           8
        .value_kind:     global_buffer
      - .offset:         24
        .size:           8
        .value_kind:     by_value
      - .offset:         32
        .size:           8
        .value_kind:     by_value
      - .offset:         40
        .size:           12
        .value_kind:     by_value
      - .offset:         56
        .size:           8
        .value_kind:     by_value
      - .offset:         64
        .size:           8
        .value_kind:     by_value
      - .offset:         72
        .size:           8
        .value_kind:     by_value
      - .offset:         80
        .size:           8
        .value_kind:     by_value
      - .offset:         88
        .size:           8
        .value_kind:     by_value
      - .offset:         96
        .size:           8
        .value_kind:     by_value
      - .offset:         104
        .size:           8
        .value_kind:     by_value
      - .offset:         112
        .size:           8
        .value_kind:     by_value
      - .offset:         120
        .size:           8
        .value_kind:     by_value
      - .offset:         128
        .size:           4
        .value_kind:     hidden_block_count_x
      - .offset:         132
        .size:           4
        .value_kind:     hidden_block_count_y
      - .offset:         136
        .size:           4
        .value_kind:     hidden_block_count_z
      - .offset:         140
        .size:           2
        .value_kind:     hidden_group_size_x
      - .offset:         142
        .size:           2
        .value_kind:     hidden_group_size_y
      - .offset:         144
        .size:           2
        .value_kind:     hidden_group_size_z
      - .offset:         146
        .size:           2
        .value_kind:     hidden_remainder_x
      - .offset:         148
        .size:           2
        .value_kind:     hidden_remainder_y
      - .offset:         150
        .size:           2
        .value_kind:     hidden_remainder_z
      - .offset:         168
        .size:           8
        .value_kind:     hidden_global_offset_x
      - .offset:         176
        .size:           8
        .value_kind:     hidden_global_offset_y
      - .offset:         184
        .size:           8
        .value_kind:     hidden_global_offset_z
      - .offset:         192
        .size:           2
        .value_kind:     hidden_grid_dims
    .group_segment_fixed_size: 0
    .kernarg_segment_align: 8
    .kernarg_segment_size: 384
    .language:       OpenCL C
    .language_version:
      - 2
      - 0
    .max_flat_workgroup_size: 1024
    .name:           _ZL10k_get_rowsILi32ELi1EXadL_ZL15dequantize_q8_0PKvliR15HIP_vector_typeIfLj2EEEE6__halfEvS1_PKiPT2_llS2_IjLj3EEmmmmmmmmm
    .private_segment_fixed_size: 0
    .sgpr_count:     56
    .sgpr_spill_count: 0
    .symbol:         _ZL10k_get_rowsILi32ELi1EXadL_ZL15dequantize_q8_0PKvliR15HIP_vector_typeIfLj2EEEE6__halfEvS1_PKiPT2_llS2_IjLj3EEmmmmmmmmm.kd
    .uniform_work_group_size: 1
    .uses_dynamic_stack: false
    .vgpr_count:     21
    .vgpr_spill_count: 0
    .wavefront_size: 64
  - .agpr_count:     0
    .args:
      - .address_space:  global
        .offset:         0
        .size:           8
        .value_kind:     global_buffer
      - .address_space:  global
        .offset:         8
        .size:           8
        .value_kind:     global_buffer
      - .address_space:  global
        .offset:         16
        .size:           8
        .value_kind:     global_buffer
      - .offset:         24
        .size:           8
        .value_kind:     by_value
      - .offset:         32
        .size:           8
        .value_kind:     by_value
      - .offset:         40
        .size:           12
        .value_kind:     by_value
      - .offset:         56
        .size:           8
        .value_kind:     by_value
      - .offset:         64
        .size:           8
        .value_kind:     by_value
      - .offset:         72
        .size:           8
        .value_kind:     by_value
      - .offset:         80
        .size:           8
        .value_kind:     by_value
      - .offset:         88
        .size:           8
        .value_kind:     by_value
      - .offset:         96
        .size:           8
        .value_kind:     by_value
      - .offset:         104
        .size:           8
        .value_kind:     by_value
      - .offset:         112
        .size:           8
        .value_kind:     by_value
      - .offset:         120
        .size:           8
        .value_kind:     by_value
      - .offset:         128
        .size:           4
        .value_kind:     hidden_block_count_x
      - .offset:         132
        .size:           4
        .value_kind:     hidden_block_count_y
      - .offset:         136
        .size:           4
        .value_kind:     hidden_block_count_z
      - .offset:         140
        .size:           2
        .value_kind:     hidden_group_size_x
      - .offset:         142
        .size:           2
        .value_kind:     hidden_group_size_y
      - .offset:         144
        .size:           2
        .value_kind:     hidden_group_size_z
      - .offset:         146
        .size:           2
        .value_kind:     hidden_remainder_x
      - .offset:         148
        .size:           2
        .value_kind:     hidden_remainder_y
      - .offset:         150
        .size:           2
        .value_kind:     hidden_remainder_z
      - .offset:         168
        .size:           8
        .value_kind:     hidden_global_offset_x
      - .offset:         176
        .size:           8
        .value_kind:     hidden_global_offset_y
      - .offset:         184
        .size:           8
        .value_kind:     hidden_global_offset_z
      - .offset:         192
        .size:           2
        .value_kind:     hidden_grid_dims
    .group_segment_fixed_size: 0
    .kernarg_segment_align: 8
    .kernarg_segment_size: 384
    .language:       OpenCL C
    .language_version:
      - 2
      - 0
    .max_flat_workgroup_size: 1024
    .name:           _ZL16k_get_rows_floatI6__half14__hip_bfloat16EvPKT_PKiPT0_ll15HIP_vector_typeIjLj3EEmmmmmmmmm
    .private_segment_fixed_size: 0
    .sgpr_count:     50
    .sgpr_spill_count: 0
    .symbol:         _ZL16k_get_rows_floatI6__half14__hip_bfloat16EvPKT_PKiPT0_ll15HIP_vector_typeIjLj3EEmmmmmmmmm.kd
    .uniform_work_group_size: 1
    .uses_dynamic_stack: false
    .vgpr_count:     18
    .vgpr_spill_count: 0
    .wavefront_size: 64
  - .agpr_count:     0
    .args:
      - .address_space:  global
        .offset:         0
        .size:           8
        .value_kind:     global_buffer
      - .address_space:  global
        .offset:         8
        .size:           8
        .value_kind:     global_buffer
      - .address_space:  global
        .offset:         16
        .size:           8
        .value_kind:     global_buffer
      - .offset:         24
        .size:           8
        .value_kind:     by_value
      - .offset:         32
        .size:           8
        .value_kind:     by_value
      - .offset:         40
        .size:           12
        .value_kind:     by_value
      - .offset:         56
        .size:           8
        .value_kind:     by_value
      - .offset:         64
        .size:           8
        .value_kind:     by_value
      - .offset:         72
        .size:           8
        .value_kind:     by_value
      - .offset:         80
        .size:           8
        .value_kind:     by_value
      - .offset:         88
        .size:           8
        .value_kind:     by_value
      - .offset:         96
        .size:           8
        .value_kind:     by_value
      - .offset:         104
        .size:           8
        .value_kind:     by_value
      - .offset:         112
        .size:           8
        .value_kind:     by_value
      - .offset:         120
        .size:           8
        .value_kind:     by_value
      - .offset:         128
        .size:           4
        .value_kind:     hidden_block_count_x
      - .offset:         132
        .size:           4
        .value_kind:     hidden_block_count_y
      - .offset:         136
        .size:           4
        .value_kind:     hidden_block_count_z
      - .offset:         140
        .size:           2
        .value_kind:     hidden_group_size_x
      - .offset:         142
        .size:           2
        .value_kind:     hidden_group_size_y
      - .offset:         144
        .size:           2
        .value_kind:     hidden_group_size_z
      - .offset:         146
        .size:           2
        .value_kind:     hidden_remainder_x
      - .offset:         148
        .size:           2
        .value_kind:     hidden_remainder_y
      - .offset:         150
        .size:           2
        .value_kind:     hidden_remainder_z
      - .offset:         168
        .size:           8
        .value_kind:     hidden_global_offset_x
      - .offset:         176
        .size:           8
        .value_kind:     hidden_global_offset_y
      - .offset:         184
        .size:           8
        .value_kind:     hidden_global_offset_z
      - .offset:         192
        .size:           2
        .value_kind:     hidden_grid_dims
    .group_segment_fixed_size: 0
    .kernarg_segment_align: 8
    .kernarg_segment_size: 384
    .language:       OpenCL C
    .language_version:
      - 2
      - 0
    .max_flat_workgroup_size: 1024
    .name:           _ZL16k_get_rows_floatIf14__hip_bfloat16EvPKT_PKiPT0_ll15HIP_vector_typeIjLj3EEmmmmmmmmm
    .private_segment_fixed_size: 0
    .sgpr_count:     50
    .sgpr_spill_count: 0
    .symbol:         _ZL16k_get_rows_floatIf14__hip_bfloat16EvPKT_PKiPT0_ll15HIP_vector_typeIjLj3EEmmmmmmmmm.kd
    .uniform_work_group_size: 1
    .uses_dynamic_stack: false
    .vgpr_count:     18
    .vgpr_spill_count: 0
    .wavefront_size: 64
  - .agpr_count:     0
    .args:
      - .address_space:  global
        .offset:         0
        .size:           8
        .value_kind:     global_buffer
      - .address_space:  global
        .offset:         8
        .size:           8
        .value_kind:     global_buffer
      - .address_space:  global
        .offset:         16
        .size:           8
        .value_kind:     global_buffer
      - .offset:         24
        .size:           8
        .value_kind:     by_value
      - .offset:         32
        .size:           8
        .value_kind:     by_value
      - .offset:         40
        .size:           12
        .value_kind:     by_value
      - .offset:         56
        .size:           8
        .value_kind:     by_value
      - .offset:         64
        .size:           8
        .value_kind:     by_value
      - .offset:         72
        .size:           8
        .value_kind:     by_value
      - .offset:         80
        .size:           8
        .value_kind:     by_value
      - .offset:         88
        .size:           8
        .value_kind:     by_value
      - .offset:         96
        .size:           8
        .value_kind:     by_value
      - .offset:         104
        .size:           8
        .value_kind:     by_value
      - .offset:         112
        .size:           8
        .value_kind:     by_value
      - .offset:         120
        .size:           8
        .value_kind:     by_value
      - .offset:         128
        .size:           4
        .value_kind:     hidden_block_count_x
      - .offset:         132
        .size:           4
        .value_kind:     hidden_block_count_y
      - .offset:         136
        .size:           4
        .value_kind:     hidden_block_count_z
      - .offset:         140
        .size:           2
        .value_kind:     hidden_group_size_x
      - .offset:         142
        .size:           2
        .value_kind:     hidden_group_size_y
      - .offset:         144
        .size:           2
        .value_kind:     hidden_group_size_z
      - .offset:         146
        .size:           2
        .value_kind:     hidden_remainder_x
      - .offset:         148
        .size:           2
        .value_kind:     hidden_remainder_y
      - .offset:         150
        .size:           2
        .value_kind:     hidden_remainder_z
      - .offset:         168
        .size:           8
        .value_kind:     hidden_global_offset_x
      - .offset:         176
        .size:           8
        .value_kind:     hidden_global_offset_y
      - .offset:         184
        .size:           8
        .value_kind:     hidden_global_offset_z
      - .offset:         192
        .size:           2
        .value_kind:     hidden_grid_dims
    .group_segment_fixed_size: 0
    .kernarg_segment_align: 8
    .kernarg_segment_size: 384
    .language:       OpenCL C
    .language_version:
      - 2
      - 0
    .max_flat_workgroup_size: 1024
    .name:           _ZL16k_get_rows_floatIi14__hip_bfloat16EvPKT_PKiPT0_ll15HIP_vector_typeIjLj3EEmmmmmmmmm
    .private_segment_fixed_size: 0
    .sgpr_count:     50
    .sgpr_spill_count: 0
    .symbol:         _ZL16k_get_rows_floatIi14__hip_bfloat16EvPKT_PKiPT0_ll15HIP_vector_typeIjLj3EEmmmmmmmmm.kd
    .uniform_work_group_size: 1
    .uses_dynamic_stack: false
    .vgpr_count:     18
    .vgpr_spill_count: 0
    .wavefront_size: 64
  - .agpr_count:     0
    .args:
      - .address_space:  global
        .offset:         0
        .size:           8
        .value_kind:     global_buffer
      - .address_space:  global
        .offset:         8
        .size:           8
        .value_kind:     global_buffer
      - .address_space:  global
        .offset:         16
        .size:           8
        .value_kind:     global_buffer
      - .offset:         24
        .size:           8
        .value_kind:     by_value
      - .offset:         32
        .size:           8
        .value_kind:     by_value
      - .offset:         40
        .size:           12
        .value_kind:     by_value
      - .offset:         56
        .size:           8
        .value_kind:     by_value
      - .offset:         64
        .size:           8
        .value_kind:     by_value
      - .offset:         72
        .size:           8
        .value_kind:     by_value
      - .offset:         80
        .size:           8
        .value_kind:     by_value
      - .offset:         88
        .size:           8
        .value_kind:     by_value
      - .offset:         96
        .size:           8
        .value_kind:     by_value
      - .offset:         104
        .size:           8
        .value_kind:     by_value
      - .offset:         112
        .size:           8
        .value_kind:     by_value
      - .offset:         120
        .size:           8
        .value_kind:     by_value
      - .offset:         128
        .size:           4
        .value_kind:     hidden_block_count_x
      - .offset:         132
        .size:           4
        .value_kind:     hidden_block_count_y
      - .offset:         136
        .size:           4
        .value_kind:     hidden_block_count_z
      - .offset:         140
        .size:           2
        .value_kind:     hidden_group_size_x
      - .offset:         142
        .size:           2
        .value_kind:     hidden_group_size_y
      - .offset:         144
        .size:           2
        .value_kind:     hidden_group_size_z
      - .offset:         146
        .size:           2
        .value_kind:     hidden_remainder_x
      - .offset:         148
        .size:           2
        .value_kind:     hidden_remainder_y
      - .offset:         150
        .size:           2
        .value_kind:     hidden_remainder_z
      - .offset:         168
        .size:           8
        .value_kind:     hidden_global_offset_x
      - .offset:         176
        .size:           8
        .value_kind:     hidden_global_offset_y
      - .offset:         184
        .size:           8
        .value_kind:     hidden_global_offset_z
      - .offset:         192
        .size:           2
        .value_kind:     hidden_grid_dims
    .group_segment_fixed_size: 0
    .kernarg_segment_align: 8
    .kernarg_segment_size: 384
    .language:       OpenCL C
    .language_version:
      - 2
      - 0
    .max_flat_workgroup_size: 1024
    .name:           _ZL16k_get_rows_floatI14__hip_bfloat16S0_EvPKT_PKiPT0_ll15HIP_vector_typeIjLj3EEmmmmmmmmm
    .private_segment_fixed_size: 0
    .sgpr_count:     50
    .sgpr_spill_count: 0
    .symbol:         _ZL16k_get_rows_floatI14__hip_bfloat16S0_EvPKT_PKiPT0_ll15HIP_vector_typeIjLj3EEmmmmmmmmm.kd
    .uniform_work_group_size: 1
    .uses_dynamic_stack: false
    .vgpr_count:     18
    .vgpr_spill_count: 0
    .wavefront_size: 64
  - .agpr_count:     0
    .args:
      - .actual_access:  read_only
        .address_space:  global
        .offset:         0
        .size:           8
        .value_kind:     global_buffer
      - .actual_access:  read_only
        .address_space:  global
        .offset:         8
        .size:           8
        .value_kind:     global_buffer
      - .actual_access:  write_only
        .address_space:  global
        .offset:         16
        .size:           8
        .value_kind:     global_buffer
      - .offset:         24
        .size:           8
        .value_kind:     by_value
      - .offset:         32
        .size:           8
        .value_kind:     by_value
      - .offset:         40
        .size:           12
        .value_kind:     by_value
      - .offset:         56
        .size:           8
        .value_kind:     by_value
      - .offset:         64
        .size:           8
        .value_kind:     by_value
      - .offset:         72
        .size:           8
        .value_kind:     by_value
      - .offset:         80
        .size:           8
        .value_kind:     by_value
      - .offset:         88
        .size:           8
        .value_kind:     by_value
      - .offset:         96
        .size:           8
        .value_kind:     by_value
      - .offset:         104
        .size:           8
        .value_kind:     by_value
      - .offset:         112
        .size:           8
        .value_kind:     by_value
      - .offset:         120
        .size:           8
        .value_kind:     by_value
      - .offset:         128
        .size:           4
        .value_kind:     hidden_block_count_x
      - .offset:         132
        .size:           4
        .value_kind:     hidden_block_count_y
      - .offset:         136
        .size:           4
        .value_kind:     hidden_block_count_z
      - .offset:         140
        .size:           2
        .value_kind:     hidden_group_size_x
      - .offset:         142
        .size:           2
        .value_kind:     hidden_group_size_y
      - .offset:         144
        .size:           2
        .value_kind:     hidden_group_size_z
      - .offset:         146
        .size:           2
        .value_kind:     hidden_remainder_x
      - .offset:         148
        .size:           2
        .value_kind:     hidden_remainder_y
      - .offset:         150
        .size:           2
        .value_kind:     hidden_remainder_z
      - .offset:         168
        .size:           8
        .value_kind:     hidden_global_offset_x
      - .offset:         176
        .size:           8
        .value_kind:     hidden_global_offset_y
      - .offset:         184
        .size:           8
        .value_kind:     hidden_global_offset_z
      - .offset:         192
        .size:           2
        .value_kind:     hidden_grid_dims
    .group_segment_fixed_size: 0
    .kernarg_segment_align: 8
    .kernarg_segment_size: 384
    .language:       OpenCL C
    .language_version:
      - 2
      - 0
    .max_flat_workgroup_size: 1024
    .name:           _ZL10k_get_rowsILi128ELi1EXadL_ZL15dequantize_q1_0PKvliR15HIP_vector_typeIfLj2EEEE14__hip_bfloat16EvS1_PKiPT2_llS2_IjLj3EEmmmmmmmmm
    .private_segment_fixed_size: 0
    .sgpr_count:     56
    .sgpr_spill_count: 0
    .symbol:         _ZL10k_get_rowsILi128ELi1EXadL_ZL15dequantize_q1_0PKvliR15HIP_vector_typeIfLj2EEEE14__hip_bfloat16EvS1_PKiPT2_llS2_IjLj3EEmmmmmmmmm.kd
    .uniform_work_group_size: 1
    .uses_dynamic_stack: false
    .vgpr_count:     24
    .vgpr_spill_count: 0
    .wavefront_size: 64
  - .agpr_count:     0
    .args:
      - .actual_access:  read_only
        .address_space:  global
        .offset:         0
        .size:           8
        .value_kind:     global_buffer
      - .actual_access:  read_only
        .address_space:  global
        .offset:         8
        .size:           8
        .value_kind:     global_buffer
      - .actual_access:  write_only
        .address_space:  global
        .offset:         16
        .size:           8
        .value_kind:     global_buffer
      - .offset:         24
        .size:           8
        .value_kind:     by_value
      - .offset:         32
        .size:           8
        .value_kind:     by_value
      - .offset:         40
        .size:           12
        .value_kind:     by_value
      - .offset:         56
        .size:           8
        .value_kind:     by_value
      - .offset:         64
        .size:           8
        .value_kind:     by_value
      - .offset:         72
        .size:           8
        .value_kind:     by_value
      - .offset:         80
        .size:           8
        .value_kind:     by_value
      - .offset:         88
        .size:           8
        .value_kind:     by_value
      - .offset:         96
        .size:           8
        .value_kind:     by_value
      - .offset:         104
        .size:           8
        .value_kind:     by_value
      - .offset:         112
        .size:           8
        .value_kind:     by_value
      - .offset:         120
        .size:           8
        .value_kind:     by_value
      - .offset:         128
        .size:           4
        .value_kind:     hidden_block_count_x
      - .offset:         132
        .size:           4
        .value_kind:     hidden_block_count_y
      - .offset:         136
        .size:           4
        .value_kind:     hidden_block_count_z
      - .offset:         140
        .size:           2
        .value_kind:     hidden_group_size_x
      - .offset:         142
        .size:           2
        .value_kind:     hidden_group_size_y
      - .offset:         144
        .size:           2
        .value_kind:     hidden_group_size_z
      - .offset:         146
        .size:           2
        .value_kind:     hidden_remainder_x
      - .offset:         148
        .size:           2
        .value_kind:     hidden_remainder_y
      - .offset:         150
        .size:           2
        .value_kind:     hidden_remainder_z
      - .offset:         168
        .size:           8
        .value_kind:     hidden_global_offset_x
      - .offset:         176
        .size:           8
        .value_kind:     hidden_global_offset_y
      - .offset:         184
        .size:           8
        .value_kind:     hidden_global_offset_z
      - .offset:         192
        .size:           2
        .value_kind:     hidden_grid_dims
    .group_segment_fixed_size: 0
    .kernarg_segment_align: 8
    .kernarg_segment_size: 384
    .language:       OpenCL C
    .language_version:
      - 2
      - 0
    .max_flat_workgroup_size: 1024
    .name:           _ZL10k_get_rowsILi32ELi2EXadL_ZL15dequantize_q4_0PKvliR15HIP_vector_typeIfLj2EEEE14__hip_bfloat16EvS1_PKiPT2_llS2_IjLj3EEmmmmmmmmm
    .private_segment_fixed_size: 0
    .sgpr_count:     56
    .sgpr_spill_count: 0
    .symbol:         _ZL10k_get_rowsILi32ELi2EXadL_ZL15dequantize_q4_0PKvliR15HIP_vector_typeIfLj2EEEE14__hip_bfloat16EvS1_PKiPT2_llS2_IjLj3EEmmmmmmmmm.kd
    .uniform_work_group_size: 1
    .uses_dynamic_stack: false
    .vgpr_count:     18
    .vgpr_spill_count: 0
    .wavefront_size: 64
  - .agpr_count:     0
    .args:
      - .actual_access:  read_only
        .address_space:  global
        .offset:         0
        .size:           8
        .value_kind:     global_buffer
      - .actual_access:  read_only
        .address_space:  global
        .offset:         8
        .size:           8
        .value_kind:     global_buffer
      - .actual_access:  write_only
        .address_space:  global
        .offset:         16
        .size:           8
        .value_kind:     global_buffer
      - .offset:         24
        .size:           8
        .value_kind:     by_value
      - .offset:         32
        .size:           8
        .value_kind:     by_value
      - .offset:         40
        .size:           12
        .value_kind:     by_value
      - .offset:         56
        .size:           8
        .value_kind:     by_value
      - .offset:         64
        .size:           8
        .value_kind:     by_value
      - .offset:         72
        .size:           8
        .value_kind:     by_value
      - .offset:         80
        .size:           8
        .value_kind:     by_value
      - .offset:         88
        .size:           8
        .value_kind:     by_value
      - .offset:         96
        .size:           8
        .value_kind:     by_value
      - .offset:         104
        .size:           8
        .value_kind:     by_value
      - .offset:         112
        .size:           8
        .value_kind:     by_value
      - .offset:         120
        .size:           8
        .value_kind:     by_value
      - .offset:         128
        .size:           4
        .value_kind:     hidden_block_count_x
      - .offset:         132
        .size:           4
        .value_kind:     hidden_block_count_y
      - .offset:         136
        .size:           4
        .value_kind:     hidden_block_count_z
      - .offset:         140
        .size:           2
        .value_kind:     hidden_group_size_x
      - .offset:         142
        .size:           2
        .value_kind:     hidden_group_size_y
      - .offset:         144
        .size:           2
        .value_kind:     hidden_group_size_z
      - .offset:         146
        .size:           2
        .value_kind:     hidden_remainder_x
      - .offset:         148
        .size:           2
        .value_kind:     hidden_remainder_y
      - .offset:         150
        .size:           2
        .value_kind:     hidden_remainder_z
      - .offset:         168
        .size:           8
        .value_kind:     hidden_global_offset_x
      - .offset:         176
        .size:           8
        .value_kind:     hidden_global_offset_y
      - .offset:         184
        .size:           8
        .value_kind:     hidden_global_offset_z
      - .offset:         192
        .size:           2
        .value_kind:     hidden_grid_dims
    .group_segment_fixed_size: 0
    .kernarg_segment_align: 8
    .kernarg_segment_size: 384
    .language:       OpenCL C
    .language_version:
      - 2
      - 0
    .max_flat_workgroup_size: 1024
    .name:           _ZL10k_get_rowsILi32ELi2EXadL_ZL15dequantize_q4_1PKvliR15HIP_vector_typeIfLj2EEEE14__hip_bfloat16EvS1_PKiPT2_llS2_IjLj3EEmmmmmmmmm
    .private_segment_fixed_size: 0
    .sgpr_count:     56
    .sgpr_spill_count: 0
    .symbol:         _ZL10k_get_rowsILi32ELi2EXadL_ZL15dequantize_q4_1PKvliR15HIP_vector_typeIfLj2EEEE14__hip_bfloat16EvS1_PKiPT2_llS2_IjLj3EEmmmmmmmmm.kd
    .uniform_work_group_size: 1
    .uses_dynamic_stack: false
    .vgpr_count:     18
    .vgpr_spill_count: 0
    .wavefront_size: 64
  - .agpr_count:     0
    .args:
      - .actual_access:  read_only
        .address_space:  global
        .offset:         0
        .size:           8
        .value_kind:     global_buffer
      - .actual_access:  read_only
        .address_space:  global
        .offset:         8
        .size:           8
        .value_kind:     global_buffer
      - .actual_access:  write_only
        .address_space:  global
        .offset:         16
        .size:           8
        .value_kind:     global_buffer
      - .offset:         24
        .size:           8
        .value_kind:     by_value
      - .offset:         32
        .size:           8
        .value_kind:     by_value
      - .offset:         40
        .size:           12
        .value_kind:     by_value
      - .offset:         56
        .size:           8
        .value_kind:     by_value
      - .offset:         64
        .size:           8
        .value_kind:     by_value
      - .offset:         72
        .size:           8
        .value_kind:     by_value
      - .offset:         80
        .size:           8
        .value_kind:     by_value
      - .offset:         88
        .size:           8
        .value_kind:     by_value
      - .offset:         96
        .size:           8
        .value_kind:     by_value
      - .offset:         104
        .size:           8
        .value_kind:     by_value
      - .offset:         112
        .size:           8
        .value_kind:     by_value
      - .offset:         120
        .size:           8
        .value_kind:     by_value
      - .offset:         128
        .size:           4
        .value_kind:     hidden_block_count_x
      - .offset:         132
        .size:           4
        .value_kind:     hidden_block_count_y
      - .offset:         136
        .size:           4
        .value_kind:     hidden_block_count_z
      - .offset:         140
        .size:           2
        .value_kind:     hidden_group_size_x
      - .offset:         142
        .size:           2
        .value_kind:     hidden_group_size_y
      - .offset:         144
        .size:           2
        .value_kind:     hidden_group_size_z
      - .offset:         146
        .size:           2
        .value_kind:     hidden_remainder_x
      - .offset:         148
        .size:           2
        .value_kind:     hidden_remainder_y
      - .offset:         150
        .size:           2
        .value_kind:     hidden_remainder_z
      - .offset:         168
        .size:           8
        .value_kind:     hidden_global_offset_x
      - .offset:         176
        .size:           8
        .value_kind:     hidden_global_offset_y
      - .offset:         184
        .size:           8
        .value_kind:     hidden_global_offset_z
      - .offset:         192
        .size:           2
        .value_kind:     hidden_grid_dims
    .group_segment_fixed_size: 0
    .kernarg_segment_align: 8
    .kernarg_segment_size: 384
    .language:       OpenCL C
    .language_version:
      - 2
      - 0
    .max_flat_workgroup_size: 1024
    .name:           _ZL10k_get_rowsILi32ELi2EXadL_ZL15dequantize_q5_0PKvliR15HIP_vector_typeIfLj2EEEE14__hip_bfloat16EvS1_PKiPT2_llS2_IjLj3EEmmmmmmmmm
    .private_segment_fixed_size: 0
    .sgpr_count:     56
    .sgpr_spill_count: 0
    .symbol:         _ZL10k_get_rowsILi32ELi2EXadL_ZL15dequantize_q5_0PKvliR15HIP_vector_typeIfLj2EEEE14__hip_bfloat16EvS1_PKiPT2_llS2_IjLj3EEmmmmmmmmm.kd
    .uniform_work_group_size: 1
    .uses_dynamic_stack: false
    .vgpr_count:     19
    .vgpr_spill_count: 0
    .wavefront_size: 64
  - .agpr_count:     0
    .args:
      - .actual_access:  read_only
        .address_space:  global
        .offset:         0
        .size:           8
        .value_kind:     global_buffer
      - .actual_access:  read_only
        .address_space:  global
        .offset:         8
        .size:           8
        .value_kind:     global_buffer
      - .actual_access:  write_only
        .address_space:  global
        .offset:         16
        .size:           8
        .value_kind:     global_buffer
      - .offset:         24
        .size:           8
        .value_kind:     by_value
      - .offset:         32
        .size:           8
        .value_kind:     by_value
      - .offset:         40
        .size:           12
        .value_kind:     by_value
      - .offset:         56
        .size:           8
        .value_kind:     by_value
      - .offset:         64
        .size:           8
        .value_kind:     by_value
      - .offset:         72
        .size:           8
        .value_kind:     by_value
      - .offset:         80
        .size:           8
        .value_kind:     by_value
      - .offset:         88
        .size:           8
        .value_kind:     by_value
      - .offset:         96
        .size:           8
        .value_kind:     by_value
      - .offset:         104
        .size:           8
        .value_kind:     by_value
      - .offset:         112
        .size:           8
        .value_kind:     by_value
      - .offset:         120
        .size:           8
        .value_kind:     by_value
      - .offset:         128
        .size:           4
        .value_kind:     hidden_block_count_x
      - .offset:         132
        .size:           4
        .value_kind:     hidden_block_count_y
      - .offset:         136
        .size:           4
        .value_kind:     hidden_block_count_z
      - .offset:         140
        .size:           2
        .value_kind:     hidden_group_size_x
      - .offset:         142
        .size:           2
        .value_kind:     hidden_group_size_y
      - .offset:         144
        .size:           2
        .value_kind:     hidden_group_size_z
      - .offset:         146
        .size:           2
        .value_kind:     hidden_remainder_x
      - .offset:         148
        .size:           2
        .value_kind:     hidden_remainder_y
      - .offset:         150
        .size:           2
        .value_kind:     hidden_remainder_z
      - .offset:         168
        .size:           8
        .value_kind:     hidden_global_offset_x
      - .offset:         176
        .size:           8
        .value_kind:     hidden_global_offset_y
      - .offset:         184
        .size:           8
        .value_kind:     hidden_global_offset_z
      - .offset:         192
        .size:           2
        .value_kind:     hidden_grid_dims
    .group_segment_fixed_size: 0
    .kernarg_segment_align: 8
    .kernarg_segment_size: 384
    .language:       OpenCL C
    .language_version:
      - 2
      - 0
    .max_flat_workgroup_size: 1024
    .name:           _ZL10k_get_rowsILi32ELi2EXadL_ZL15dequantize_q5_1PKvliR15HIP_vector_typeIfLj2EEEE14__hip_bfloat16EvS1_PKiPT2_llS2_IjLj3EEmmmmmmmmm
    .private_segment_fixed_size: 0
    .sgpr_count:     56
    .sgpr_spill_count: 0
    .symbol:         _ZL10k_get_rowsILi32ELi2EXadL_ZL15dequantize_q5_1PKvliR15HIP_vector_typeIfLj2EEEE14__hip_bfloat16EvS1_PKiPT2_llS2_IjLj3EEmmmmmmmmm.kd
    .uniform_work_group_size: 1
    .uses_dynamic_stack: false
    .vgpr_count:     18
    .vgpr_spill_count: 0
    .wavefront_size: 64
  - .agpr_count:     0
    .args:
      - .actual_access:  read_only
        .address_space:  global
        .offset:         0
        .size:           8
        .value_kind:     global_buffer
      - .actual_access:  read_only
        .address_space:  global
        .offset:         8
        .size:           8
        .value_kind:     global_buffer
      - .actual_access:  write_only
        .address_space:  global
        .offset:         16
        .size:           8
        .value_kind:     global_buffer
      - .offset:         24
        .size:           8
        .value_kind:     by_value
      - .offset:         32
        .size:           8
        .value_kind:     by_value
      - .offset:         40
        .size:           12
        .value_kind:     by_value
      - .offset:         56
        .size:           8
        .value_kind:     by_value
      - .offset:         64
        .size:           8
        .value_kind:     by_value
      - .offset:         72
        .size:           8
        .value_kind:     by_value
      - .offset:         80
        .size:           8
        .value_kind:     by_value
      - .offset:         88
        .size:           8
        .value_kind:     by_value
      - .offset:         96
        .size:           8
        .value_kind:     by_value
      - .offset:         104
        .size:           8
        .value_kind:     by_value
      - .offset:         112
        .size:           8
        .value_kind:     by_value
      - .offset:         120
        .size:           8
        .value_kind:     by_value
      - .offset:         128
        .size:           4
        .value_kind:     hidden_block_count_x
      - .offset:         132
        .size:           4
        .value_kind:     hidden_block_count_y
      - .offset:         136
        .size:           4
        .value_kind:     hidden_block_count_z
      - .offset:         140
        .size:           2
        .value_kind:     hidden_group_size_x
      - .offset:         142
        .size:           2
        .value_kind:     hidden_group_size_y
      - .offset:         144
        .size:           2
        .value_kind:     hidden_group_size_z
      - .offset:         146
        .size:           2
        .value_kind:     hidden_remainder_x
      - .offset:         148
        .size:           2
        .value_kind:     hidden_remainder_y
      - .offset:         150
        .size:           2
        .value_kind:     hidden_remainder_z
      - .offset:         168
        .size:           8
        .value_kind:     hidden_global_offset_x
      - .offset:         176
        .size:           8
        .value_kind:     hidden_global_offset_y
      - .offset:         184
        .size:           8
        .value_kind:     hidden_global_offset_z
      - .offset:         192
        .size:           2
        .value_kind:     hidden_grid_dims
    .group_segment_fixed_size: 0
    .kernarg_segment_align: 8
    .kernarg_segment_size: 384
    .language:       OpenCL C
    .language_version:
      - 2
      - 0
    .max_flat_workgroup_size: 1024
    .name:           _ZL10k_get_rowsILi32ELi1EXadL_ZL15dequantize_q8_0PKvliR15HIP_vector_typeIfLj2EEEE14__hip_bfloat16EvS1_PKiPT2_llS2_IjLj3EEmmmmmmmmm
    .private_segment_fixed_size: 0
    .sgpr_count:     56
    .sgpr_spill_count: 0
    .symbol:         _ZL10k_get_rowsILi32ELi1EXadL_ZL15dequantize_q8_0PKvliR15HIP_vector_typeIfLj2EEEE14__hip_bfloat16EvS1_PKiPT2_llS2_IjLj3EEmmmmmmmmm.kd
    .uniform_work_group_size: 1
    .uses_dynamic_stack: false
    .vgpr_count:     21
    .vgpr_spill_count: 0
    .wavefront_size: 64
  - .agpr_count:     0
    .args:
      - .actual_access:  read_only
        .address_space:  global
        .offset:         0
        .size:           8
        .value_kind:     global_buffer
      - .actual_access:  read_only
        .address_space:  global
        .offset:         8
        .size:           8
        .value_kind:     global_buffer
      - .actual_access:  write_only
        .address_space:  global
        .offset:         16
        .size:           8
        .value_kind:     global_buffer
      - .offset:         24
        .size:           8
        .value_kind:     by_value
      - .offset:         32
        .size:           8
        .value_kind:     by_value
      - .offset:         40
        .size:           4
        .value_kind:     hidden_block_count_x
      - .offset:         44
        .size:           4
        .value_kind:     hidden_block_count_y
      - .offset:         48
        .size:           4
        .value_kind:     hidden_block_count_z
      - .offset:         52
        .size:           2
        .value_kind:     hidden_group_size_x
      - .offset:         54
        .size:           2
        .value_kind:     hidden_group_size_y
      - .offset:         56
        .size:           2
        .value_kind:     hidden_group_size_z
      - .offset:         58
        .size:           2
        .value_kind:     hidden_remainder_x
      - .offset:         60
        .size:           2
        .value_kind:     hidden_remainder_y
      - .offset:         62
        .size:           2
        .value_kind:     hidden_remainder_z
      - .offset:         80
        .size:           8
        .value_kind:     hidden_global_offset_x
      - .offset:         88
        .size:           8
        .value_kind:     hidden_global_offset_y
      - .offset:         96
        .size:           8
        .value_kind:     hidden_global_offset_z
      - .offset:         104
        .size:           2
        .value_kind:     hidden_grid_dims
    .group_segment_fixed_size: 0
    .kernarg_segment_align: 8
    .kernarg_segment_size: 296
    .language:       OpenCL C
    .language_version:
      - 2
      - 0
    .max_flat_workgroup_size: 1024
    .name:           _ZL21k_get_rows_back_floatIffEvPKT_PKiPT0_ll
    .private_segment_fixed_size: 0
    .sgpr_count:     18
    .sgpr_spill_count: 0
    .symbol:         _ZL21k_get_rows_back_floatIffEvPKT_PKiPT0_ll.kd
    .uniform_work_group_size: 1
    .uses_dynamic_stack: false
    .vgpr_count:     8
    .vgpr_spill_count: 0
    .wavefront_size: 64
amdhsa.target:   amdgcn-amd-amdhsa--gfx950
amdhsa.version:
  - 1
  - 2
...

	.end_amdgpu_metadata
